;; amdgpu-corpus repo=ROCm/rocSPARSE kind=compiled arch=gfx90a opt=O3
	.text
	.amdgcn_target "amdgcn-amd-amdhsa--gfx90a"
	.amdhsa_code_object_version 6
	.section	.text._ZN9rocsparseL13ellmvn_kernelILj512EiffffEEvT0_S1_S1_NS_24const_host_device_scalarIT4_EEPKS1_PKT1_PKT2_S4_PT3_21rocsparse_index_base_b,"axG",@progbits,_ZN9rocsparseL13ellmvn_kernelILj512EiffffEEvT0_S1_S1_NS_24const_host_device_scalarIT4_EEPKS1_PKT1_PKT2_S4_PT3_21rocsparse_index_base_b,comdat
	.globl	_ZN9rocsparseL13ellmvn_kernelILj512EiffffEEvT0_S1_S1_NS_24const_host_device_scalarIT4_EEPKS1_PKT1_PKT2_S4_PT3_21rocsparse_index_base_b ; -- Begin function _ZN9rocsparseL13ellmvn_kernelILj512EiffffEEvT0_S1_S1_NS_24const_host_device_scalarIT4_EEPKS1_PKT1_PKT2_S4_PT3_21rocsparse_index_base_b
	.p2align	8
	.type	_ZN9rocsparseL13ellmvn_kernelILj512EiffffEEvT0_S1_S1_NS_24const_host_device_scalarIT4_EEPKS1_PKT1_PKT2_S4_PT3_21rocsparse_index_base_b,@function
_ZN9rocsparseL13ellmvn_kernelILj512EiffffEEvT0_S1_S1_NS_24const_host_device_scalarIT4_EEPKS1_PKT1_PKT2_S4_PT3_21rocsparse_index_base_b: ; @_ZN9rocsparseL13ellmvn_kernelILj512EiffffEEvT0_S1_S1_NS_24const_host_device_scalarIT4_EEPKS1_PKT1_PKT2_S4_PT3_21rocsparse_index_base_b
; %bb.0:
	s_load_dwordx2 s[18:19], s[4:5], 0x40
	s_load_dwordx2 s[16:17], s[4:5], 0x10
	;; [unrolled: 1-line block ×3, first 2 shown]
	s_waitcnt lgkmcnt(0)
	s_bitcmp1_b32 s19, 0
	s_cselect_b64 s[8:9], -1, 0
	s_xor_b64 s[0:1], s[8:9], -1
	s_and_b64 vcc, exec, s[8:9]
	s_cbranch_vccnz .LBB0_2
; %bb.1:
	s_load_dword s16, s[16:17], 0x0
.LBB0_2:
	s_andn2_b64 vcc, exec, s[0:1]
	s_cbranch_vccnz .LBB0_4
; %bb.3:
	s_load_dword s2, s[2:3], 0x0
.LBB0_4:
	s_waitcnt lgkmcnt(0)
	v_cmp_neq_f32_e64 s[0:1], s16, 0
	v_cmp_neq_f32_e64 s[8:9], s2, 1.0
	s_or_b64 s[0:1], s[0:1], s[8:9]
	s_andn2_b64 vcc, exec, s[0:1]
	s_cbranch_vccnz .LBB0_14
; %bb.5:
	s_load_dwordx4 s[8:11], s[4:5], 0x0
	v_lshl_or_b32 v0, s6, 9, v0
	s_waitcnt lgkmcnt(0)
	v_cmp_gt_i32_e32 vcc, s8, v0
	s_and_saveexec_b64 s[0:1], vcc
	s_cbranch_execz .LBB0_14
; %bb.6:
	s_load_dwordx2 s[6:7], s[4:5], 0x38
	s_cmp_lt_i32 s10, 1
	v_ashrrev_i32_e32 v1, 31, v0
	s_cbranch_scc1 .LBB0_15
; %bb.7:
	s_load_dwordx4 s[12:15], s[4:5], 0x18
	s_load_dwordx2 s[20:21], s[4:5], 0x28
	s_ashr_i32 s1, s8, 31
	s_mov_b32 s0, s8
	s_add_i32 s3, s10, -1
	s_lshl_b64 s[10:11], s[0:1], 2
	v_lshlrev_b64 v[2:3], 2, v[0:1]
	s_mov_b64 s[4:5], 0
	v_mov_b32_e32 v5, 0
	s_waitcnt lgkmcnt(0)
	v_mov_b32_e32 v7, s13
	v_mov_b32_e32 v8, s11
	;; [unrolled: 1-line block ×3, first 2 shown]
	s_branch .LBB0_9
.LBB0_8:                                ;   in Loop: Header=BB0_9 Depth=1
	s_or_b64 exec, exec, s[22:23]
	s_cmp_eq_u32 s3, 0
	s_cselect_b64 s[22:23], -1, 0
	s_or_b64 s[0:1], s[0:1], s[22:23]
	s_add_i32 s3, s3, -1
	s_and_b64 s[0:1], exec, s[0:1]
	v_add_co_u32_e32 v2, vcc, s10, v2
	s_or_b64 s[4:5], s[0:1], s[4:5]
	v_addc_co_u32_e32 v3, vcc, v3, v8, vcc
	s_andn2_b64 exec, exec, s[4:5]
	s_cbranch_execz .LBB0_11
.LBB0_9:                                ; =>This Inner Loop Header: Depth=1
	v_add_co_u32_e32 v10, vcc, s12, v2
	v_addc_co_u32_e32 v11, vcc, v7, v3, vcc
	global_load_dword v4, v[10:11], off glc slc
	s_waitcnt vmcnt(0)
	v_subrev_u32_e32 v4, s18, v4
	v_cmp_gt_i32_e32 vcc, 0, v4
	v_cmp_le_i32_e64 s[0:1], s9, v4
	s_or_b64 s[0:1], vcc, s[0:1]
	s_xor_b64 s[24:25], s[0:1], -1
	s_and_saveexec_b64 s[22:23], s[24:25]
	s_cbranch_execz .LBB0_8
; %bb.10:                               ;   in Loop: Header=BB0_9 Depth=1
	v_mov_b32_e32 v9, s15
	v_add_co_u32_e32 v10, vcc, s14, v2
	v_addc_co_u32_e32 v11, vcc, v9, v3, vcc
	v_lshlrev_b64 v[12:13], 2, v[4:5]
	v_mov_b32_e32 v4, s21
	v_add_co_u32_e32 v12, vcc, s20, v12
	v_addc_co_u32_e32 v13, vcc, v4, v13, vcc
	global_load_dword v4, v[10:11], off glc slc
	global_load_dword v9, v[12:13], off
	s_waitcnt vmcnt(0)
	v_fmac_f32_e32 v6, v4, v9
	s_branch .LBB0_8
.LBB0_11:
	s_or_b64 exec, exec, s[4:5]
	v_cmp_eq_f32_e64 s[0:1], s2, 0
	s_and_b64 vcc, exec, s[0:1]
	v_mul_f32_e32 v2, s16, v6
	s_cbranch_vccz .LBB0_16
.LBB0_12:
	v_lshlrev_b64 v[4:5], 2, v[0:1]
	s_waitcnt lgkmcnt(0)
	v_mov_b32_e32 v3, s7
	v_add_co_u32_e32 v4, vcc, s6, v4
	v_addc_co_u32_e32 v5, vcc, v3, v5, vcc
	global_store_dword v[4:5], v2, off glc slc
	s_cbranch_execnz .LBB0_14
.LBB0_13:
	v_lshlrev_b64 v[0:1], 2, v[0:1]
	s_waitcnt lgkmcnt(0)
	v_mov_b32_e32 v3, s7
	v_add_co_u32_e32 v0, vcc, s6, v0
	v_addc_co_u32_e32 v1, vcc, v3, v1, vcc
	global_load_dword v3, v[0:1], off glc slc
	s_waitcnt vmcnt(0)
	v_fmac_f32_e32 v2, s2, v3
	global_store_dword v[0:1], v2, off glc slc
.LBB0_14:
	s_endpgm
.LBB0_15:
	v_mov_b32_e32 v6, 0
	v_cmp_eq_f32_e64 s[0:1], s2, 0
	s_and_b64 vcc, exec, s[0:1]
	v_mul_f32_e32 v2, s16, v6
	s_cbranch_vccnz .LBB0_12
.LBB0_16:
	s_branch .LBB0_13
	.section	.rodata,"a",@progbits
	.p2align	6, 0x0
	.amdhsa_kernel _ZN9rocsparseL13ellmvn_kernelILj512EiffffEEvT0_S1_S1_NS_24const_host_device_scalarIT4_EEPKS1_PKT1_PKT2_S4_PT3_21rocsparse_index_base_b
		.amdhsa_group_segment_fixed_size 0
		.amdhsa_private_segment_fixed_size 0
		.amdhsa_kernarg_size 72
		.amdhsa_user_sgpr_count 6
		.amdhsa_user_sgpr_private_segment_buffer 1
		.amdhsa_user_sgpr_dispatch_ptr 0
		.amdhsa_user_sgpr_queue_ptr 0
		.amdhsa_user_sgpr_kernarg_segment_ptr 1
		.amdhsa_user_sgpr_dispatch_id 0
		.amdhsa_user_sgpr_flat_scratch_init 0
		.amdhsa_user_sgpr_kernarg_preload_length 0
		.amdhsa_user_sgpr_kernarg_preload_offset 0
		.amdhsa_user_sgpr_private_segment_size 0
		.amdhsa_uses_dynamic_stack 0
		.amdhsa_system_sgpr_private_segment_wavefront_offset 0
		.amdhsa_system_sgpr_workgroup_id_x 1
		.amdhsa_system_sgpr_workgroup_id_y 0
		.amdhsa_system_sgpr_workgroup_id_z 0
		.amdhsa_system_sgpr_workgroup_info 0
		.amdhsa_system_vgpr_workitem_id 0
		.amdhsa_next_free_vgpr 14
		.amdhsa_next_free_sgpr 26
		.amdhsa_accum_offset 16
		.amdhsa_reserve_vcc 1
		.amdhsa_reserve_flat_scratch 0
		.amdhsa_float_round_mode_32 0
		.amdhsa_float_round_mode_16_64 0
		.amdhsa_float_denorm_mode_32 3
		.amdhsa_float_denorm_mode_16_64 3
		.amdhsa_dx10_clamp 1
		.amdhsa_ieee_mode 1
		.amdhsa_fp16_overflow 0
		.amdhsa_tg_split 0
		.amdhsa_exception_fp_ieee_invalid_op 0
		.amdhsa_exception_fp_denorm_src 0
		.amdhsa_exception_fp_ieee_div_zero 0
		.amdhsa_exception_fp_ieee_overflow 0
		.amdhsa_exception_fp_ieee_underflow 0
		.amdhsa_exception_fp_ieee_inexact 0
		.amdhsa_exception_int_div_zero 0
	.end_amdhsa_kernel
	.section	.text._ZN9rocsparseL13ellmvn_kernelILj512EiffffEEvT0_S1_S1_NS_24const_host_device_scalarIT4_EEPKS1_PKT1_PKT2_S4_PT3_21rocsparse_index_base_b,"axG",@progbits,_ZN9rocsparseL13ellmvn_kernelILj512EiffffEEvT0_S1_S1_NS_24const_host_device_scalarIT4_EEPKS1_PKT1_PKT2_S4_PT3_21rocsparse_index_base_b,comdat
.Lfunc_end0:
	.size	_ZN9rocsparseL13ellmvn_kernelILj512EiffffEEvT0_S1_S1_NS_24const_host_device_scalarIT4_EEPKS1_PKT1_PKT2_S4_PT3_21rocsparse_index_base_b, .Lfunc_end0-_ZN9rocsparseL13ellmvn_kernelILj512EiffffEEvT0_S1_S1_NS_24const_host_device_scalarIT4_EEPKS1_PKT1_PKT2_S4_PT3_21rocsparse_index_base_b
                                        ; -- End function
	.section	.AMDGPU.csdata,"",@progbits
; Kernel info:
; codeLenInByte = 520
; NumSgprs: 30
; NumVgprs: 14
; NumAgprs: 0
; TotalNumVgprs: 14
; ScratchSize: 0
; MemoryBound: 0
; FloatMode: 240
; IeeeMode: 1
; LDSByteSize: 0 bytes/workgroup (compile time only)
; SGPRBlocks: 3
; VGPRBlocks: 1
; NumSGPRsForWavesPerEU: 30
; NumVGPRsForWavesPerEU: 14
; AccumOffset: 16
; Occupancy: 8
; WaveLimiterHint : 1
; COMPUTE_PGM_RSRC2:SCRATCH_EN: 0
; COMPUTE_PGM_RSRC2:USER_SGPR: 6
; COMPUTE_PGM_RSRC2:TRAP_HANDLER: 0
; COMPUTE_PGM_RSRC2:TGID_X_EN: 1
; COMPUTE_PGM_RSRC2:TGID_Y_EN: 0
; COMPUTE_PGM_RSRC2:TGID_Z_EN: 0
; COMPUTE_PGM_RSRC2:TIDIG_COMP_CNT: 0
; COMPUTE_PGM_RSRC3_GFX90A:ACCUM_OFFSET: 3
; COMPUTE_PGM_RSRC3_GFX90A:TG_SPLIT: 0
	.section	.text._ZN9rocsparseL13ellmvt_kernelILj1024EiffffEEv20rocsparse_operation_T0_S2_S2_NS_24const_host_device_scalarIT4_EEPKS2_PKT1_PKT2_PT3_21rocsparse_index_base_b,"axG",@progbits,_ZN9rocsparseL13ellmvt_kernelILj1024EiffffEEv20rocsparse_operation_T0_S2_S2_NS_24const_host_device_scalarIT4_EEPKS2_PKT1_PKT2_PT3_21rocsparse_index_base_b,comdat
	.globl	_ZN9rocsparseL13ellmvt_kernelILj1024EiffffEEv20rocsparse_operation_T0_S2_S2_NS_24const_host_device_scalarIT4_EEPKS2_PKT1_PKT2_PT3_21rocsparse_index_base_b ; -- Begin function _ZN9rocsparseL13ellmvt_kernelILj1024EiffffEEv20rocsparse_operation_T0_S2_S2_NS_24const_host_device_scalarIT4_EEPKS2_PKT1_PKT2_PT3_21rocsparse_index_base_b
	.p2align	8
	.type	_ZN9rocsparseL13ellmvt_kernelILj1024EiffffEEv20rocsparse_operation_T0_S2_S2_NS_24const_host_device_scalarIT4_EEPKS2_PKT1_PKT2_PT3_21rocsparse_index_base_b,@function
_ZN9rocsparseL13ellmvt_kernelILj1024EiffffEEv20rocsparse_operation_T0_S2_S2_NS_24const_host_device_scalarIT4_EEPKS2_PKT1_PKT2_PT3_21rocsparse_index_base_b: ; @_ZN9rocsparseL13ellmvt_kernelILj1024EiffffEEv20rocsparse_operation_T0_S2_S2_NS_24const_host_device_scalarIT4_EEPKS2_PKT1_PKT2_PT3_21rocsparse_index_base_b
; %bb.0:
	s_load_dwordx2 s[2:3], s[4:5], 0x38
	s_load_dwordx2 s[0:1], s[4:5], 0x10
	s_waitcnt lgkmcnt(0)
	s_bitcmp1_b32 s3, 0
	s_cselect_b64 s[8:9], -1, 0
	s_and_b64 vcc, exec, s[8:9]
	s_cbranch_vccnz .LBB1_2
; %bb.1:
	s_load_dword s0, s[0:1], 0x0
.LBB1_2:
	s_waitcnt lgkmcnt(0)
	v_cmp_eq_f32_e64 s[8:9], s0, 0
	s_and_b64 vcc, exec, s[8:9]
	s_cbranch_vccnz .LBB1_11
; %bb.3:
	s_load_dwordx4 s[12:15], s[4:5], 0x4
	v_lshl_or_b32 v0, s6, 10, v0
	s_waitcnt lgkmcnt(0)
	v_cmp_gt_i32_e32 vcc, s12, v0
	s_and_saveexec_b64 s[6:7], vcc
	s_cbranch_execz .LBB1_11
; %bb.4:
	s_cmp_lt_i32 s14, 1
	s_cbranch_scc1 .LBB1_11
; %bb.5:
	s_load_dwordx8 s[4:11], s[4:5], 0x18
	v_ashrrev_i32_e32 v1, 31, v0
	v_lshlrev_b64 v[2:3], 2, v[0:1]
	s_mov_b32 s1, s12
	s_ashr_i32 s3, s12, 31
	s_waitcnt lgkmcnt(0)
	v_mov_b32_e32 v4, s9
	v_add_co_u32_e32 v2, vcc, s8, v2
	v_addc_co_u32_e32 v3, vcc, v4, v3, vcc
	global_load_dword v2, v[2:3], off
	s_mov_b32 s12, 0
	s_mov_b64 s[8:9], 0
	v_mov_b32_e32 v8, s1
	v_mov_b32_e32 v9, s5
	;; [unrolled: 1-line block ×3, first 2 shown]
                                        ; implicit-def: $sgpr16_sgpr17
	s_waitcnt vmcnt(0)
	v_mul_f32_e32 v10, s0, v2
	s_branch .LBB1_7
.LBB1_6:                                ;   in Loop: Header=BB1_7 Depth=1
	s_or_b64 exec, exec, s[0:1]
	s_and_b64 s[0:1], exec, s[16:17]
	s_or_b64 s[8:9], s[0:1], s[8:9]
	s_andn2_b64 exec, exec, s[8:9]
	s_cbranch_execz .LBB1_11
.LBB1_7:                                ; =>This Loop Header: Depth=1
                                        ;     Child Loop BB1_9 Depth 2
	v_mad_u64_u32 v[4:5], s[0:1], s12, v8, v[0:1]
	s_mul_i32 s0, s12, s3
	v_add_u32_e32 v5, s0, v5
	v_lshlrev_b64 v[4:5], 2, v[4:5]
	v_add_co_u32_e32 v6, vcc, s4, v4
	v_addc_co_u32_e32 v7, vcc, v9, v5, vcc
	global_load_dword v2, v[6:7], off glc slc
	s_or_b64 s[16:17], s[16:17], exec
	s_waitcnt vmcnt(0)
	v_subrev_u32_e32 v2, s2, v2
	v_cmp_lt_i32_e32 vcc, -1, v2
	v_cmp_gt_i32_e64 s[0:1], s13, v2
	s_and_b64 s[18:19], vcc, s[0:1]
	s_and_saveexec_b64 s[0:1], s[18:19]
	s_cbranch_execz .LBB1_6
; %bb.8:                                ;   in Loop: Header=BB1_7 Depth=1
	v_mov_b32_e32 v6, s7
	v_add_co_u32_e32 v4, vcc, s6, v4
	v_addc_co_u32_e32 v5, vcc, v6, v5, vcc
	global_load_dword v6, v[4:5], off glc slc
	v_lshlrev_b64 v[4:5], 2, v[2:3]
	v_mov_b32_e32 v2, s11
	v_add_co_u32_e32 v4, vcc, s10, v4
	v_addc_co_u32_e32 v5, vcc, v2, v5, vcc
	global_load_dword v7, v[4:5], off
	s_mov_b64 s[18:19], 0
	s_waitcnt vmcnt(1)
	v_mul_f32_e32 v2, v10, v6
.LBB1_9:                                ;   Parent Loop BB1_7 Depth=1
                                        ; =>  This Inner Loop Header: Depth=2
	s_waitcnt vmcnt(0)
	v_add_f32_e32 v6, v7, v2
	global_atomic_cmpswap v6, v[4:5], v[6:7], off glc
	s_waitcnt vmcnt(0)
	v_cmp_eq_u32_e32 vcc, v6, v7
	s_or_b64 s[18:19], vcc, s[18:19]
	v_mov_b32_e32 v7, v6
	s_andn2_b64 exec, exec, s[18:19]
	s_cbranch_execnz .LBB1_9
; %bb.10:                               ;   in Loop: Header=BB1_7 Depth=1
	s_or_b64 exec, exec, s[18:19]
	s_add_i32 s12, s12, 1
	s_cmp_eq_u32 s12, s14
	s_cselect_b64 s[18:19], -1, 0
	s_andn2_b64 s[16:17], s[16:17], exec
	s_and_b64 s[18:19], s[18:19], exec
	s_or_b64 s[16:17], s[16:17], s[18:19]
	s_branch .LBB1_6
.LBB1_11:
	s_endpgm
	.section	.rodata,"a",@progbits
	.p2align	6, 0x0
	.amdhsa_kernel _ZN9rocsparseL13ellmvt_kernelILj1024EiffffEEv20rocsparse_operation_T0_S2_S2_NS_24const_host_device_scalarIT4_EEPKS2_PKT1_PKT2_PT3_21rocsparse_index_base_b
		.amdhsa_group_segment_fixed_size 0
		.amdhsa_private_segment_fixed_size 0
		.amdhsa_kernarg_size 64
		.amdhsa_user_sgpr_count 6
		.amdhsa_user_sgpr_private_segment_buffer 1
		.amdhsa_user_sgpr_dispatch_ptr 0
		.amdhsa_user_sgpr_queue_ptr 0
		.amdhsa_user_sgpr_kernarg_segment_ptr 1
		.amdhsa_user_sgpr_dispatch_id 0
		.amdhsa_user_sgpr_flat_scratch_init 0
		.amdhsa_user_sgpr_kernarg_preload_length 0
		.amdhsa_user_sgpr_kernarg_preload_offset 0
		.amdhsa_user_sgpr_private_segment_size 0
		.amdhsa_uses_dynamic_stack 0
		.amdhsa_system_sgpr_private_segment_wavefront_offset 0
		.amdhsa_system_sgpr_workgroup_id_x 1
		.amdhsa_system_sgpr_workgroup_id_y 0
		.amdhsa_system_sgpr_workgroup_id_z 0
		.amdhsa_system_sgpr_workgroup_info 0
		.amdhsa_system_vgpr_workitem_id 0
		.amdhsa_next_free_vgpr 11
		.amdhsa_next_free_sgpr 20
		.amdhsa_accum_offset 12
		.amdhsa_reserve_vcc 1
		.amdhsa_reserve_flat_scratch 0
		.amdhsa_float_round_mode_32 0
		.amdhsa_float_round_mode_16_64 0
		.amdhsa_float_denorm_mode_32 3
		.amdhsa_float_denorm_mode_16_64 3
		.amdhsa_dx10_clamp 1
		.amdhsa_ieee_mode 1
		.amdhsa_fp16_overflow 0
		.amdhsa_tg_split 0
		.amdhsa_exception_fp_ieee_invalid_op 0
		.amdhsa_exception_fp_denorm_src 0
		.amdhsa_exception_fp_ieee_div_zero 0
		.amdhsa_exception_fp_ieee_overflow 0
		.amdhsa_exception_fp_ieee_underflow 0
		.amdhsa_exception_fp_ieee_inexact 0
		.amdhsa_exception_int_div_zero 0
	.end_amdhsa_kernel
	.section	.text._ZN9rocsparseL13ellmvt_kernelILj1024EiffffEEv20rocsparse_operation_T0_S2_S2_NS_24const_host_device_scalarIT4_EEPKS2_PKT1_PKT2_PT3_21rocsparse_index_base_b,"axG",@progbits,_ZN9rocsparseL13ellmvt_kernelILj1024EiffffEEv20rocsparse_operation_T0_S2_S2_NS_24const_host_device_scalarIT4_EEPKS2_PKT1_PKT2_PT3_21rocsparse_index_base_b,comdat
.Lfunc_end1:
	.size	_ZN9rocsparseL13ellmvt_kernelILj1024EiffffEEv20rocsparse_operation_T0_S2_S2_NS_24const_host_device_scalarIT4_EEPKS2_PKT1_PKT2_PT3_21rocsparse_index_base_b, .Lfunc_end1-_ZN9rocsparseL13ellmvt_kernelILj1024EiffffEEv20rocsparse_operation_T0_S2_S2_NS_24const_host_device_scalarIT4_EEPKS2_PKT1_PKT2_PT3_21rocsparse_index_base_b
                                        ; -- End function
	.section	.AMDGPU.csdata,"",@progbits
; Kernel info:
; codeLenInByte = 420
; NumSgprs: 24
; NumVgprs: 11
; NumAgprs: 0
; TotalNumVgprs: 11
; ScratchSize: 0
; MemoryBound: 0
; FloatMode: 240
; IeeeMode: 1
; LDSByteSize: 0 bytes/workgroup (compile time only)
; SGPRBlocks: 2
; VGPRBlocks: 1
; NumSGPRsForWavesPerEU: 24
; NumVGPRsForWavesPerEU: 11
; AccumOffset: 12
; Occupancy: 8
; WaveLimiterHint : 1
; COMPUTE_PGM_RSRC2:SCRATCH_EN: 0
; COMPUTE_PGM_RSRC2:USER_SGPR: 6
; COMPUTE_PGM_RSRC2:TRAP_HANDLER: 0
; COMPUTE_PGM_RSRC2:TGID_X_EN: 1
; COMPUTE_PGM_RSRC2:TGID_Y_EN: 0
; COMPUTE_PGM_RSRC2:TGID_Z_EN: 0
; COMPUTE_PGM_RSRC2:TIDIG_COMP_CNT: 0
; COMPUTE_PGM_RSRC3_GFX90A:ACCUM_OFFSET: 2
; COMPUTE_PGM_RSRC3_GFX90A:TG_SPLIT: 0
	.section	.text._ZN9rocsparseL13ellmvn_kernelILj512ElffffEEvT0_S1_S1_NS_24const_host_device_scalarIT4_EEPKS1_PKT1_PKT2_S4_PT3_21rocsparse_index_base_b,"axG",@progbits,_ZN9rocsparseL13ellmvn_kernelILj512ElffffEEvT0_S1_S1_NS_24const_host_device_scalarIT4_EEPKS1_PKT1_PKT2_S4_PT3_21rocsparse_index_base_b,comdat
	.globl	_ZN9rocsparseL13ellmvn_kernelILj512ElffffEEvT0_S1_S1_NS_24const_host_device_scalarIT4_EEPKS1_PKT1_PKT2_S4_PT3_21rocsparse_index_base_b ; -- Begin function _ZN9rocsparseL13ellmvn_kernelILj512ElffffEEvT0_S1_S1_NS_24const_host_device_scalarIT4_EEPKS1_PKT1_PKT2_S4_PT3_21rocsparse_index_base_b
	.p2align	8
	.type	_ZN9rocsparseL13ellmvn_kernelILj512ElffffEEvT0_S1_S1_NS_24const_host_device_scalarIT4_EEPKS1_PKT1_PKT2_S4_PT3_21rocsparse_index_base_b,@function
_ZN9rocsparseL13ellmvn_kernelILj512ElffffEEvT0_S1_S1_NS_24const_host_device_scalarIT4_EEPKS1_PKT1_PKT2_S4_PT3_21rocsparse_index_base_b: ; @_ZN9rocsparseL13ellmvn_kernelILj512ElffffEEvT0_S1_S1_NS_24const_host_device_scalarIT4_EEPKS1_PKT1_PKT2_S4_PT3_21rocsparse_index_base_b
; %bb.0:
	s_load_dwordx2 s[16:17], s[4:5], 0x48
	s_load_dwordx2 s[2:3], s[4:5], 0x38
	s_load_dwordx8 s[8:15], s[4:5], 0x0
	s_waitcnt lgkmcnt(0)
	s_bitcmp1_b32 s17, 0
	s_cselect_b64 s[18:19], -1, 0
	s_xor_b64 s[0:1], s[18:19], -1
	s_and_b64 vcc, exec, s[18:19]
	s_cbranch_vccnz .LBB2_2
; %bb.1:
	s_load_dword s14, s[14:15], 0x0
.LBB2_2:
	s_andn2_b64 vcc, exec, s[0:1]
	s_cbranch_vccnz .LBB2_4
; %bb.3:
	s_load_dword s2, s[2:3], 0x0
.LBB2_4:
	s_waitcnt lgkmcnt(0)
	v_cmp_neq_f32_e64 s[0:1], s14, 0
	v_cmp_neq_f32_e64 s[18:19], s2, 1.0
	s_or_b64 s[0:1], s[0:1], s[18:19]
	s_andn2_b64 vcc, exec, s[0:1]
	s_cbranch_vccnz .LBB2_15
; %bb.5:
	v_lshl_or_b32 v2, s6, 9, v0
	v_mov_b32_e32 v3, 0
	v_cmp_gt_i64_e32 vcc, s[8:9], v[2:3]
	s_and_saveexec_b64 s[0:1], vcc
	s_cbranch_execz .LBB2_15
; %bb.6:
	s_load_dwordx2 s[6:7], s[4:5], 0x40
	v_cmp_lt_i64_e64 s[0:1], s[12:13], 1
	s_and_b64 vcc, exec, s[0:1]
	v_lshlrev_b64 v[0:1], 2, v[2:3]
	s_cbranch_vccnz .LBB2_12
; %bb.7:
	s_load_dwordx4 s[20:23], s[4:5], 0x20
	s_load_dwordx2 s[18:19], s[4:5], 0x30
	v_lshlrev_b64 v[2:3], 3, v[2:3]
	s_add_u32 s4, s12, -1
	s_mov_b32 s0, 0
	s_waitcnt lgkmcnt(0)
	v_mov_b32_e32 v5, s21
	v_add_co_u32_e32 v4, vcc, s20, v2
	v_addc_co_u32_e32 v5, vcc, v5, v3, vcc
	s_addc_u32 s5, s13, -1
	s_lshl_b64 s[12:13], s[8:9], 3
	v_mov_b32_e32 v2, s23
	v_add_co_u32_e32 v6, vcc, s22, v0
	s_lshl_b64 s[20:21], s[8:9], 2
	v_addc_co_u32_e32 v7, vcc, v2, v1, vcc
	s_mov_b64 s[8:9], 0
	v_mov_b32_e32 v3, 0
	v_mov_b32_e32 v2, s0
	;; [unrolled: 1-line block ×4, first 2 shown]
	s_branch .LBB2_9
.LBB2_8:                                ;   in Loop: Header=BB2_9 Depth=1
	s_or_b64 exec, exec, s[22:23]
	s_cmp_eq_u64 s[4:5], 0
	s_cselect_b64 s[22:23], -1, 0
	s_or_b64 s[0:1], s[0:1], s[22:23]
	s_add_u32 s4, s4, -1
	v_add_co_u32_e32 v4, vcc, s12, v4
	s_addc_u32 s5, s5, -1
	v_addc_co_u32_e32 v5, vcc, v5, v10, vcc
	s_and_b64 s[0:1], exec, s[0:1]
	v_add_co_u32_e32 v6, vcc, s20, v6
	s_or_b64 s[8:9], s[0:1], s[8:9]
	v_addc_co_u32_e32 v7, vcc, v7, v11, vcc
	s_andn2_b64 exec, exec, s[8:9]
	s_cbranch_execz .LBB2_11
.LBB2_9:                                ; =>This Inner Loop Header: Depth=1
	global_load_dwordx2 v[8:9], v[4:5], off glc slc
	s_waitcnt vmcnt(0)
	v_subrev_co_u32_e32 v8, vcc, s16, v8
	v_subb_co_u32_e32 v9, vcc, v9, v2, vcc
	v_cmp_gt_i64_e32 vcc, 0, v[8:9]
	v_cmp_le_i64_e64 s[0:1], s[10:11], v[8:9]
	s_or_b64 s[0:1], vcc, s[0:1]
	s_xor_b64 s[24:25], s[0:1], -1
	s_and_saveexec_b64 s[22:23], s[24:25]
	s_cbranch_execz .LBB2_8
; %bb.10:                               ;   in Loop: Header=BB2_9 Depth=1
	v_lshlrev_b64 v[8:9], 2, v[8:9]
	v_mov_b32_e32 v12, s19
	v_add_co_u32_e32 v8, vcc, s18, v8
	v_addc_co_u32_e32 v9, vcc, v12, v9, vcc
	global_load_dword v12, v[6:7], off glc slc
	global_load_dword v13, v[8:9], off
	s_waitcnt vmcnt(0)
	v_fmac_f32_e32 v3, v12, v13
	s_branch .LBB2_8
.LBB2_11:
	s_or_b64 exec, exec, s[8:9]
.LBB2_12:
	v_cmp_eq_f32_e64 s[0:1], s2, 0
	s_and_b64 vcc, exec, s[0:1]
	v_mul_f32_e32 v2, s14, v3
	s_cbranch_vccz .LBB2_16
; %bb.13:
	s_waitcnt lgkmcnt(0)
	v_mov_b32_e32 v3, s7
	v_add_co_u32_e32 v4, vcc, s6, v0
	v_addc_co_u32_e32 v5, vcc, v3, v1, vcc
	global_store_dword v[4:5], v2, off glc slc
	s_cbranch_execnz .LBB2_15
.LBB2_14:
	s_waitcnt lgkmcnt(0)
	v_mov_b32_e32 v3, s7
	v_add_co_u32_e32 v0, vcc, s6, v0
	v_addc_co_u32_e32 v1, vcc, v3, v1, vcc
	global_load_dword v3, v[0:1], off glc slc
	s_waitcnt vmcnt(0)
	v_fmac_f32_e32 v2, s2, v3
	global_store_dword v[0:1], v2, off glc slc
.LBB2_15:
	s_endpgm
.LBB2_16:
	s_branch .LBB2_14
	.section	.rodata,"a",@progbits
	.p2align	6, 0x0
	.amdhsa_kernel _ZN9rocsparseL13ellmvn_kernelILj512ElffffEEvT0_S1_S1_NS_24const_host_device_scalarIT4_EEPKS1_PKT1_PKT2_S4_PT3_21rocsparse_index_base_b
		.amdhsa_group_segment_fixed_size 0
		.amdhsa_private_segment_fixed_size 0
		.amdhsa_kernarg_size 80
		.amdhsa_user_sgpr_count 6
		.amdhsa_user_sgpr_private_segment_buffer 1
		.amdhsa_user_sgpr_dispatch_ptr 0
		.amdhsa_user_sgpr_queue_ptr 0
		.amdhsa_user_sgpr_kernarg_segment_ptr 1
		.amdhsa_user_sgpr_dispatch_id 0
		.amdhsa_user_sgpr_flat_scratch_init 0
		.amdhsa_user_sgpr_kernarg_preload_length 0
		.amdhsa_user_sgpr_kernarg_preload_offset 0
		.amdhsa_user_sgpr_private_segment_size 0
		.amdhsa_uses_dynamic_stack 0
		.amdhsa_system_sgpr_private_segment_wavefront_offset 0
		.amdhsa_system_sgpr_workgroup_id_x 1
		.amdhsa_system_sgpr_workgroup_id_y 0
		.amdhsa_system_sgpr_workgroup_id_z 0
		.amdhsa_system_sgpr_workgroup_info 0
		.amdhsa_system_vgpr_workitem_id 0
		.amdhsa_next_free_vgpr 14
		.amdhsa_next_free_sgpr 26
		.amdhsa_accum_offset 16
		.amdhsa_reserve_vcc 1
		.amdhsa_reserve_flat_scratch 0
		.amdhsa_float_round_mode_32 0
		.amdhsa_float_round_mode_16_64 0
		.amdhsa_float_denorm_mode_32 3
		.amdhsa_float_denorm_mode_16_64 3
		.amdhsa_dx10_clamp 1
		.amdhsa_ieee_mode 1
		.amdhsa_fp16_overflow 0
		.amdhsa_tg_split 0
		.amdhsa_exception_fp_ieee_invalid_op 0
		.amdhsa_exception_fp_denorm_src 0
		.amdhsa_exception_fp_ieee_div_zero 0
		.amdhsa_exception_fp_ieee_overflow 0
		.amdhsa_exception_fp_ieee_underflow 0
		.amdhsa_exception_fp_ieee_inexact 0
		.amdhsa_exception_int_div_zero 0
	.end_amdhsa_kernel
	.section	.text._ZN9rocsparseL13ellmvn_kernelILj512ElffffEEvT0_S1_S1_NS_24const_host_device_scalarIT4_EEPKS1_PKT1_PKT2_S4_PT3_21rocsparse_index_base_b,"axG",@progbits,_ZN9rocsparseL13ellmvn_kernelILj512ElffffEEvT0_S1_S1_NS_24const_host_device_scalarIT4_EEPKS1_PKT1_PKT2_S4_PT3_21rocsparse_index_base_b,comdat
.Lfunc_end2:
	.size	_ZN9rocsparseL13ellmvn_kernelILj512ElffffEEvT0_S1_S1_NS_24const_host_device_scalarIT4_EEPKS1_PKT1_PKT2_S4_PT3_21rocsparse_index_base_b, .Lfunc_end2-_ZN9rocsparseL13ellmvn_kernelILj512ElffffEEvT0_S1_S1_NS_24const_host_device_scalarIT4_EEPKS1_PKT1_PKT2_S4_PT3_21rocsparse_index_base_b
                                        ; -- End function
	.section	.AMDGPU.csdata,"",@progbits
; Kernel info:
; codeLenInByte = 508
; NumSgprs: 30
; NumVgprs: 14
; NumAgprs: 0
; TotalNumVgprs: 14
; ScratchSize: 0
; MemoryBound: 0
; FloatMode: 240
; IeeeMode: 1
; LDSByteSize: 0 bytes/workgroup (compile time only)
; SGPRBlocks: 3
; VGPRBlocks: 1
; NumSGPRsForWavesPerEU: 30
; NumVGPRsForWavesPerEU: 14
; AccumOffset: 16
; Occupancy: 8
; WaveLimiterHint : 1
; COMPUTE_PGM_RSRC2:SCRATCH_EN: 0
; COMPUTE_PGM_RSRC2:USER_SGPR: 6
; COMPUTE_PGM_RSRC2:TRAP_HANDLER: 0
; COMPUTE_PGM_RSRC2:TGID_X_EN: 1
; COMPUTE_PGM_RSRC2:TGID_Y_EN: 0
; COMPUTE_PGM_RSRC2:TGID_Z_EN: 0
; COMPUTE_PGM_RSRC2:TIDIG_COMP_CNT: 0
; COMPUTE_PGM_RSRC3_GFX90A:ACCUM_OFFSET: 3
; COMPUTE_PGM_RSRC3_GFX90A:TG_SPLIT: 0
	.section	.text._ZN9rocsparseL13ellmvt_kernelILj1024ElffffEEv20rocsparse_operation_T0_S2_S2_NS_24const_host_device_scalarIT4_EEPKS2_PKT1_PKT2_PT3_21rocsparse_index_base_b,"axG",@progbits,_ZN9rocsparseL13ellmvt_kernelILj1024ElffffEEv20rocsparse_operation_T0_S2_S2_NS_24const_host_device_scalarIT4_EEPKS2_PKT1_PKT2_PT3_21rocsparse_index_base_b,comdat
	.globl	_ZN9rocsparseL13ellmvt_kernelILj1024ElffffEEv20rocsparse_operation_T0_S2_S2_NS_24const_host_device_scalarIT4_EEPKS2_PKT1_PKT2_PT3_21rocsparse_index_base_b ; -- Begin function _ZN9rocsparseL13ellmvt_kernelILj1024ElffffEEv20rocsparse_operation_T0_S2_S2_NS_24const_host_device_scalarIT4_EEPKS2_PKT1_PKT2_PT3_21rocsparse_index_base_b
	.p2align	8
	.type	_ZN9rocsparseL13ellmvt_kernelILj1024ElffffEEv20rocsparse_operation_T0_S2_S2_NS_24const_host_device_scalarIT4_EEPKS2_PKT1_PKT2_PT3_21rocsparse_index_base_b,@function
_ZN9rocsparseL13ellmvt_kernelILj1024ElffffEEv20rocsparse_operation_T0_S2_S2_NS_24const_host_device_scalarIT4_EEPKS2_PKT1_PKT2_PT3_21rocsparse_index_base_b: ; @_ZN9rocsparseL13ellmvt_kernelILj1024ElffffEEv20rocsparse_operation_T0_S2_S2_NS_24const_host_device_scalarIT4_EEPKS2_PKT1_PKT2_PT3_21rocsparse_index_base_b
; %bb.0:
	s_load_dwordx2 s[2:3], s[4:5], 0x48
	s_load_dwordx8 s[8:15], s[4:5], 0x8
	s_waitcnt lgkmcnt(0)
	s_bitcmp1_b32 s3, 0
	s_cselect_b64 s[0:1], -1, 0
	s_and_b64 vcc, exec, s[0:1]
	s_cbranch_vccnz .LBB3_2
; %bb.1:
	s_load_dword s14, s[14:15], 0x0
.LBB3_2:
	s_waitcnt lgkmcnt(0)
	v_cmp_eq_f32_e64 s[0:1], s14, 0
	s_and_b64 vcc, exec, s[0:1]
	s_cbranch_vccnz .LBB3_11
; %bb.3:
	v_lshl_or_b32 v0, s6, 10, v0
	v_mov_b32_e32 v1, 0
	v_cmp_gt_i64_e32 vcc, s[8:9], v[0:1]
	s_and_saveexec_b64 s[0:1], vcc
	s_cbranch_execz .LBB3_11
; %bb.4:
	v_cmp_lt_i64_e64 s[0:1], s[12:13], 1
	s_and_b64 vcc, exec, s[0:1]
	s_cbranch_vccnz .LBB3_11
; %bb.5:
	s_load_dwordx8 s[16:23], s[4:5], 0x28
	v_lshlrev_b64 v[2:3], 2, v[0:1]
	s_mov_b32 s0, 0
	s_mov_b64 s[4:5], 0
	v_mov_b32_e32 v6, s8
	s_waitcnt lgkmcnt(0)
	v_mov_b32_e32 v4, s21
	v_add_co_u32_e32 v2, vcc, s20, v2
	v_addc_co_u32_e32 v3, vcc, v4, v3, vcc
	global_load_dword v2, v[2:3], off
	v_mov_b32_e32 v7, s0
	v_mov_b32_e32 v8, s17
                                        ; implicit-def: $sgpr6_sgpr7
	s_waitcnt vmcnt(0)
	v_mul_f32_e32 v9, s14, v2
	s_mov_b64 s[14:15], 0
	s_branch .LBB3_7
.LBB3_6:                                ;   in Loop: Header=BB3_7 Depth=1
	s_or_b64 exec, exec, s[0:1]
	s_and_b64 s[0:1], exec, s[6:7]
	s_or_b64 s[4:5], s[0:1], s[4:5]
	s_andn2_b64 exec, exec, s[4:5]
	s_cbranch_execz .LBB3_11
.LBB3_7:                                ; =>This Loop Header: Depth=1
                                        ;     Child Loop BB3_9 Depth 2
	s_mul_i32 s0, s15, s8
	s_mul_i32 s1, s14, s9
	s_add_i32 s3, s1, s0
	v_mad_u64_u32 v[2:3], s[0:1], s14, v6, v[0:1]
	v_add_u32_e32 v3, s3, v3
	v_lshlrev_b64 v[4:5], 3, v[2:3]
	v_add_co_u32_e32 v4, vcc, s16, v4
	v_addc_co_u32_e32 v5, vcc, v8, v5, vcc
	global_load_dwordx2 v[4:5], v[4:5], off glc slc
	s_or_b64 s[6:7], s[6:7], exec
	s_waitcnt vmcnt(0)
	v_subrev_co_u32_e32 v4, vcc, s2, v4
	v_subb_co_u32_e32 v5, vcc, v5, v7, vcc
	v_cmp_lt_i64_e32 vcc, -1, v[4:5]
	v_cmp_gt_i64_e64 s[0:1], s[10:11], v[4:5]
	s_and_b64 s[20:21], vcc, s[0:1]
	s_and_saveexec_b64 s[0:1], s[20:21]
	s_cbranch_execz .LBB3_6
; %bb.8:                                ;   in Loop: Header=BB3_7 Depth=1
	v_lshlrev_b64 v[2:3], 2, v[2:3]
	v_mov_b32_e32 v10, s19
	v_add_co_u32_e32 v2, vcc, s18, v2
	v_addc_co_u32_e32 v3, vcc, v10, v3, vcc
	global_load_dword v10, v[2:3], off glc slc
	v_lshlrev_b64 v[2:3], 2, v[4:5]
	v_mov_b32_e32 v4, s23
	v_add_co_u32_e32 v2, vcc, s22, v2
	v_addc_co_u32_e32 v3, vcc, v4, v3, vcc
	global_load_dword v5, v[2:3], off
	s_mov_b64 s[20:21], 0
	s_waitcnt vmcnt(1)
	v_mul_f32_e32 v10, v9, v10
.LBB3_9:                                ;   Parent Loop BB3_7 Depth=1
                                        ; =>  This Inner Loop Header: Depth=2
	s_waitcnt vmcnt(0)
	v_add_f32_e32 v4, v5, v10
	global_atomic_cmpswap v4, v[2:3], v[4:5], off glc
	s_waitcnt vmcnt(0)
	v_cmp_eq_u32_e32 vcc, v4, v5
	s_or_b64 s[20:21], vcc, s[20:21]
	v_mov_b32_e32 v5, v4
	s_andn2_b64 exec, exec, s[20:21]
	s_cbranch_execnz .LBB3_9
; %bb.10:                               ;   in Loop: Header=BB3_7 Depth=1
	s_or_b64 exec, exec, s[20:21]
	s_add_u32 s14, s14, 1
	s_addc_u32 s15, s15, 0
	s_cmp_eq_u64 s[14:15], s[12:13]
	s_cselect_b64 s[20:21], -1, 0
	s_andn2_b64 s[6:7], s[6:7], exec
	s_and_b64 s[20:21], s[20:21], exec
	s_or_b64 s[6:7], s[6:7], s[20:21]
	s_branch .LBB3_6
.LBB3_11:
	s_endpgm
	.section	.rodata,"a",@progbits
	.p2align	6, 0x0
	.amdhsa_kernel _ZN9rocsparseL13ellmvt_kernelILj1024ElffffEEv20rocsparse_operation_T0_S2_S2_NS_24const_host_device_scalarIT4_EEPKS2_PKT1_PKT2_PT3_21rocsparse_index_base_b
		.amdhsa_group_segment_fixed_size 0
		.amdhsa_private_segment_fixed_size 0
		.amdhsa_kernarg_size 80
		.amdhsa_user_sgpr_count 6
		.amdhsa_user_sgpr_private_segment_buffer 1
		.amdhsa_user_sgpr_dispatch_ptr 0
		.amdhsa_user_sgpr_queue_ptr 0
		.amdhsa_user_sgpr_kernarg_segment_ptr 1
		.amdhsa_user_sgpr_dispatch_id 0
		.amdhsa_user_sgpr_flat_scratch_init 0
		.amdhsa_user_sgpr_kernarg_preload_length 0
		.amdhsa_user_sgpr_kernarg_preload_offset 0
		.amdhsa_user_sgpr_private_segment_size 0
		.amdhsa_uses_dynamic_stack 0
		.amdhsa_system_sgpr_private_segment_wavefront_offset 0
		.amdhsa_system_sgpr_workgroup_id_x 1
		.amdhsa_system_sgpr_workgroup_id_y 0
		.amdhsa_system_sgpr_workgroup_id_z 0
		.amdhsa_system_sgpr_workgroup_info 0
		.amdhsa_system_vgpr_workitem_id 0
		.amdhsa_next_free_vgpr 11
		.amdhsa_next_free_sgpr 24
		.amdhsa_accum_offset 12
		.amdhsa_reserve_vcc 1
		.amdhsa_reserve_flat_scratch 0
		.amdhsa_float_round_mode_32 0
		.amdhsa_float_round_mode_16_64 0
		.amdhsa_float_denorm_mode_32 3
		.amdhsa_float_denorm_mode_16_64 3
		.amdhsa_dx10_clamp 1
		.amdhsa_ieee_mode 1
		.amdhsa_fp16_overflow 0
		.amdhsa_tg_split 0
		.amdhsa_exception_fp_ieee_invalid_op 0
		.amdhsa_exception_fp_denorm_src 0
		.amdhsa_exception_fp_ieee_div_zero 0
		.amdhsa_exception_fp_ieee_overflow 0
		.amdhsa_exception_fp_ieee_underflow 0
		.amdhsa_exception_fp_ieee_inexact 0
		.amdhsa_exception_int_div_zero 0
	.end_amdhsa_kernel
	.section	.text._ZN9rocsparseL13ellmvt_kernelILj1024ElffffEEv20rocsparse_operation_T0_S2_S2_NS_24const_host_device_scalarIT4_EEPKS2_PKT1_PKT2_PT3_21rocsparse_index_base_b,"axG",@progbits,_ZN9rocsparseL13ellmvt_kernelILj1024ElffffEEv20rocsparse_operation_T0_S2_S2_NS_24const_host_device_scalarIT4_EEPKS2_PKT1_PKT2_PT3_21rocsparse_index_base_b,comdat
.Lfunc_end3:
	.size	_ZN9rocsparseL13ellmvt_kernelILj1024ElffffEEv20rocsparse_operation_T0_S2_S2_NS_24const_host_device_scalarIT4_EEPKS2_PKT1_PKT2_PT3_21rocsparse_index_base_b, .Lfunc_end3-_ZN9rocsparseL13ellmvt_kernelILj1024ElffffEEv20rocsparse_operation_T0_S2_S2_NS_24const_host_device_scalarIT4_EEPKS2_PKT1_PKT2_PT3_21rocsparse_index_base_b
                                        ; -- End function
	.section	.AMDGPU.csdata,"",@progbits
; Kernel info:
; codeLenInByte = 436
; NumSgprs: 28
; NumVgprs: 11
; NumAgprs: 0
; TotalNumVgprs: 11
; ScratchSize: 0
; MemoryBound: 0
; FloatMode: 240
; IeeeMode: 1
; LDSByteSize: 0 bytes/workgroup (compile time only)
; SGPRBlocks: 3
; VGPRBlocks: 1
; NumSGPRsForWavesPerEU: 28
; NumVGPRsForWavesPerEU: 11
; AccumOffset: 12
; Occupancy: 8
; WaveLimiterHint : 1
; COMPUTE_PGM_RSRC2:SCRATCH_EN: 0
; COMPUTE_PGM_RSRC2:USER_SGPR: 6
; COMPUTE_PGM_RSRC2:TRAP_HANDLER: 0
; COMPUTE_PGM_RSRC2:TGID_X_EN: 1
; COMPUTE_PGM_RSRC2:TGID_Y_EN: 0
; COMPUTE_PGM_RSRC2:TGID_Z_EN: 0
; COMPUTE_PGM_RSRC2:TIDIG_COMP_CNT: 0
; COMPUTE_PGM_RSRC3_GFX90A:ACCUM_OFFSET: 2
; COMPUTE_PGM_RSRC3_GFX90A:TG_SPLIT: 0
	.section	.text._ZN9rocsparseL13ellmvn_kernelILj512EiddddEEvT0_S1_S1_NS_24const_host_device_scalarIT4_EEPKS1_PKT1_PKT2_S4_PT3_21rocsparse_index_base_b,"axG",@progbits,_ZN9rocsparseL13ellmvn_kernelILj512EiddddEEvT0_S1_S1_NS_24const_host_device_scalarIT4_EEPKS1_PKT1_PKT2_S4_PT3_21rocsparse_index_base_b,comdat
	.globl	_ZN9rocsparseL13ellmvn_kernelILj512EiddddEEvT0_S1_S1_NS_24const_host_device_scalarIT4_EEPKS1_PKT1_PKT2_S4_PT3_21rocsparse_index_base_b ; -- Begin function _ZN9rocsparseL13ellmvn_kernelILj512EiddddEEvT0_S1_S1_NS_24const_host_device_scalarIT4_EEPKS1_PKT1_PKT2_S4_PT3_21rocsparse_index_base_b
	.p2align	8
	.type	_ZN9rocsparseL13ellmvn_kernelILj512EiddddEEvT0_S1_S1_NS_24const_host_device_scalarIT4_EEPKS1_PKT1_PKT2_S4_PT3_21rocsparse_index_base_b,@function
_ZN9rocsparseL13ellmvn_kernelILj512EiddddEEvT0_S1_S1_NS_24const_host_device_scalarIT4_EEPKS1_PKT1_PKT2_S4_PT3_21rocsparse_index_base_b: ; @_ZN9rocsparseL13ellmvn_kernelILj512EiddddEEvT0_S1_S1_NS_24const_host_device_scalarIT4_EEPKS1_PKT1_PKT2_S4_PT3_21rocsparse_index_base_b
; %bb.0:
	s_load_dwordx2 s[12:13], s[4:5], 0x40
	s_load_dwordx2 s[8:9], s[4:5], 0x10
	s_load_dwordx2 s[0:1], s[4:5], 0x30
	s_waitcnt lgkmcnt(0)
	s_bitcmp1_b32 s13, 0
	s_cselect_b64 s[10:11], -1, 0
	s_xor_b64 s[2:3], s[10:11], -1
	s_and_b64 vcc, exec, s[10:11]
	v_pk_mov_b32 v[2:3], s[8:9], s[8:9] op_sel:[0,1]
	s_cbranch_vccnz .LBB4_2
; %bb.1:
	v_pk_mov_b32 v[2:3], s[8:9], s[8:9] op_sel:[0,1]
	flat_load_dwordx2 v[2:3], v[2:3]
.LBB4_2:
	s_andn2_b64 vcc, exec, s[2:3]
	v_pk_mov_b32 v[4:5], s[0:1], s[0:1] op_sel:[0,1]
	s_cbranch_vccnz .LBB4_4
; %bb.3:
	v_pk_mov_b32 v[4:5], s[0:1], s[0:1] op_sel:[0,1]
	flat_load_dwordx2 v[4:5], v[4:5]
.LBB4_4:
	s_waitcnt vmcnt(0) lgkmcnt(0)
	v_cmp_neq_f64_e32 vcc, 0, v[2:3]
	v_cmp_neq_f64_e64 s[0:1], 1.0, v[4:5]
	s_or_b64 s[0:1], vcc, s[0:1]
	s_and_saveexec_b64 s[2:3], s[0:1]
	s_cbranch_execz .LBB4_15
; %bb.5:
	s_load_dwordx4 s[8:11], s[4:5], 0x0
	v_lshl_or_b32 v0, s6, 9, v0
	s_waitcnt lgkmcnt(0)
	v_cmp_gt_i32_e32 vcc, s8, v0
	s_and_b64 exec, exec, vcc
	s_cbranch_execz .LBB4_15
; %bb.6:
	s_load_dwordx2 s[2:3], s[4:5], 0x38
	s_cmp_lt_i32 s10, 1
	v_ashrrev_i32_e32 v1, 31, v0
	s_cbranch_scc1 .LBB4_16
; %bb.7:
	s_load_dwordx4 s[16:19], s[4:5], 0x18
	s_load_dwordx2 s[6:7], s[4:5], 0x28
	v_lshlrev_b64 v[6:7], 2, v[0:1]
	s_ashr_i32 s1, s8, 31
	s_mov_b32 s0, s8
	s_waitcnt lgkmcnt(0)
	v_mov_b32_e32 v9, s17
	v_add_co_u32_e32 v8, vcc, s16, v6
	v_addc_co_u32_e32 v9, vcc, v9, v7, vcc
	v_lshlrev_b64 v[6:7], 3, v[0:1]
	s_lshl_b64 s[4:5], s[0:1], 2
	v_mov_b32_e32 v11, s19
	v_add_co_u32_e32 v10, vcc, s18, v6
	s_lshl_b64 s[14:15], s[0:1], 3
	s_add_i32 s8, s10, -1
	v_addc_co_u32_e32 v11, vcc, v11, v7, vcc
	s_mov_b64 s[10:11], 0
	v_pk_mov_b32 v[6:7], 0, 0
	v_mov_b32_e32 v13, 0
	v_mov_b32_e32 v14, s5
	;; [unrolled: 1-line block ×3, first 2 shown]
	s_branch .LBB4_9
.LBB4_8:                                ;   in Loop: Header=BB4_9 Depth=1
	s_or_b64 exec, exec, s[16:17]
	s_cmp_eq_u32 s8, 0
	s_cselect_b64 s[16:17], -1, 0
	v_add_co_u32_e32 v8, vcc, s4, v8
	s_or_b64 s[0:1], s[0:1], s[16:17]
	s_add_i32 s8, s8, -1
	v_addc_co_u32_e32 v9, vcc, v9, v14, vcc
	s_and_b64 s[0:1], exec, s[0:1]
	v_add_co_u32_e32 v10, vcc, s14, v10
	s_or_b64 s[10:11], s[0:1], s[10:11]
	v_addc_co_u32_e32 v11, vcc, v11, v15, vcc
	s_andn2_b64 exec, exec, s[10:11]
	s_cbranch_execz .LBB4_11
.LBB4_9:                                ; =>This Inner Loop Header: Depth=1
	global_load_dword v12, v[8:9], off glc slc
	s_waitcnt vmcnt(0)
	v_subrev_u32_e32 v12, s12, v12
	v_cmp_gt_i32_e32 vcc, 0, v12
	v_cmp_le_i32_e64 s[0:1], s9, v12
	s_or_b64 s[0:1], vcc, s[0:1]
	s_xor_b64 s[18:19], s[0:1], -1
	s_and_saveexec_b64 s[16:17], s[18:19]
	s_cbranch_execz .LBB4_8
; %bb.10:                               ;   in Loop: Header=BB4_9 Depth=1
	v_lshlrev_b64 v[16:17], 3, v[12:13]
	v_mov_b32_e32 v12, s7
	v_add_co_u32_e32 v16, vcc, s6, v16
	v_addc_co_u32_e32 v17, vcc, v12, v17, vcc
	global_load_dwordx2 v[18:19], v[10:11], off glc slc
	global_load_dwordx2 v[20:21], v[16:17], off
	s_waitcnt vmcnt(0)
	v_fmac_f64_e32 v[6:7], v[18:19], v[20:21]
	s_branch .LBB4_8
.LBB4_11:
	s_or_b64 exec, exec, s[10:11]
	v_cmp_eq_f64_e32 vcc, 0, v[4:5]
	s_and_saveexec_b64 s[0:1], vcc
	s_xor_b64 s[0:1], exec, s[0:1]
	s_cbranch_execz .LBB4_13
.LBB4_12:
	v_lshlrev_b64 v[0:1], 3, v[0:1]
	s_waitcnt lgkmcnt(0)
	v_mov_b32_e32 v4, s3
	v_add_co_u32_e32 v0, vcc, s2, v0
	v_mul_f64 v[2:3], v[2:3], v[6:7]
	v_addc_co_u32_e32 v1, vcc, v4, v1, vcc
	global_store_dwordx2 v[0:1], v[2:3], off glc slc
                                        ; implicit-def: $vgpr0
                                        ; implicit-def: $vgpr2_vgpr3
                                        ; implicit-def: $vgpr6_vgpr7
                                        ; implicit-def: $vgpr4_vgpr5
.LBB4_13:
	s_andn2_saveexec_b64 s[0:1], s[0:1]
	s_cbranch_execz .LBB4_15
; %bb.14:
	v_lshlrev_b64 v[0:1], 3, v[0:1]
	s_waitcnt lgkmcnt(0)
	v_mov_b32_e32 v8, s3
	v_add_co_u32_e32 v0, vcc, s2, v0
	v_addc_co_u32_e32 v1, vcc, v8, v1, vcc
	global_load_dwordx2 v[8:9], v[0:1], off glc slc
	v_mul_f64 v[2:3], v[2:3], v[6:7]
	s_waitcnt vmcnt(0)
	v_fmac_f64_e32 v[2:3], v[4:5], v[8:9]
	global_store_dwordx2 v[0:1], v[2:3], off glc slc
.LBB4_15:
	s_endpgm
.LBB4_16:
	v_pk_mov_b32 v[6:7], 0, 0
	v_cmp_eq_f64_e32 vcc, 0, v[4:5]
	s_and_saveexec_b64 s[0:1], vcc
	s_xor_b64 s[0:1], exec, s[0:1]
	s_cbranch_execnz .LBB4_12
	s_branch .LBB4_13
	.section	.rodata,"a",@progbits
	.p2align	6, 0x0
	.amdhsa_kernel _ZN9rocsparseL13ellmvn_kernelILj512EiddddEEvT0_S1_S1_NS_24const_host_device_scalarIT4_EEPKS1_PKT1_PKT2_S4_PT3_21rocsparse_index_base_b
		.amdhsa_group_segment_fixed_size 0
		.amdhsa_private_segment_fixed_size 0
		.amdhsa_kernarg_size 72
		.amdhsa_user_sgpr_count 6
		.amdhsa_user_sgpr_private_segment_buffer 1
		.amdhsa_user_sgpr_dispatch_ptr 0
		.amdhsa_user_sgpr_queue_ptr 0
		.amdhsa_user_sgpr_kernarg_segment_ptr 1
		.amdhsa_user_sgpr_dispatch_id 0
		.amdhsa_user_sgpr_flat_scratch_init 0
		.amdhsa_user_sgpr_kernarg_preload_length 0
		.amdhsa_user_sgpr_kernarg_preload_offset 0
		.amdhsa_user_sgpr_private_segment_size 0
		.amdhsa_uses_dynamic_stack 0
		.amdhsa_system_sgpr_private_segment_wavefront_offset 0
		.amdhsa_system_sgpr_workgroup_id_x 1
		.amdhsa_system_sgpr_workgroup_id_y 0
		.amdhsa_system_sgpr_workgroup_id_z 0
		.amdhsa_system_sgpr_workgroup_info 0
		.amdhsa_system_vgpr_workitem_id 0
		.amdhsa_next_free_vgpr 22
		.amdhsa_next_free_sgpr 20
		.amdhsa_accum_offset 24
		.amdhsa_reserve_vcc 1
		.amdhsa_reserve_flat_scratch 0
		.amdhsa_float_round_mode_32 0
		.amdhsa_float_round_mode_16_64 0
		.amdhsa_float_denorm_mode_32 3
		.amdhsa_float_denorm_mode_16_64 3
		.amdhsa_dx10_clamp 1
		.amdhsa_ieee_mode 1
		.amdhsa_fp16_overflow 0
		.amdhsa_tg_split 0
		.amdhsa_exception_fp_ieee_invalid_op 0
		.amdhsa_exception_fp_denorm_src 0
		.amdhsa_exception_fp_ieee_div_zero 0
		.amdhsa_exception_fp_ieee_overflow 0
		.amdhsa_exception_fp_ieee_underflow 0
		.amdhsa_exception_fp_ieee_inexact 0
		.amdhsa_exception_int_div_zero 0
	.end_amdhsa_kernel
	.section	.text._ZN9rocsparseL13ellmvn_kernelILj512EiddddEEvT0_S1_S1_NS_24const_host_device_scalarIT4_EEPKS1_PKT1_PKT2_S4_PT3_21rocsparse_index_base_b,"axG",@progbits,_ZN9rocsparseL13ellmvn_kernelILj512EiddddEEvT0_S1_S1_NS_24const_host_device_scalarIT4_EEPKS1_PKT1_PKT2_S4_PT3_21rocsparse_index_base_b,comdat
.Lfunc_end4:
	.size	_ZN9rocsparseL13ellmvn_kernelILj512EiddddEEvT0_S1_S1_NS_24const_host_device_scalarIT4_EEPKS1_PKT1_PKT2_S4_PT3_21rocsparse_index_base_b, .Lfunc_end4-_ZN9rocsparseL13ellmvn_kernelILj512EiddddEEvT0_S1_S1_NS_24const_host_device_scalarIT4_EEPKS1_PKT1_PKT2_S4_PT3_21rocsparse_index_base_b
                                        ; -- End function
	.section	.AMDGPU.csdata,"",@progbits
; Kernel info:
; codeLenInByte = 592
; NumSgprs: 24
; NumVgprs: 22
; NumAgprs: 0
; TotalNumVgprs: 22
; ScratchSize: 0
; MemoryBound: 1
; FloatMode: 240
; IeeeMode: 1
; LDSByteSize: 0 bytes/workgroup (compile time only)
; SGPRBlocks: 2
; VGPRBlocks: 2
; NumSGPRsForWavesPerEU: 24
; NumVGPRsForWavesPerEU: 22
; AccumOffset: 24
; Occupancy: 8
; WaveLimiterHint : 1
; COMPUTE_PGM_RSRC2:SCRATCH_EN: 0
; COMPUTE_PGM_RSRC2:USER_SGPR: 6
; COMPUTE_PGM_RSRC2:TRAP_HANDLER: 0
; COMPUTE_PGM_RSRC2:TGID_X_EN: 1
; COMPUTE_PGM_RSRC2:TGID_Y_EN: 0
; COMPUTE_PGM_RSRC2:TGID_Z_EN: 0
; COMPUTE_PGM_RSRC2:TIDIG_COMP_CNT: 0
; COMPUTE_PGM_RSRC3_GFX90A:ACCUM_OFFSET: 5
; COMPUTE_PGM_RSRC3_GFX90A:TG_SPLIT: 0
	.section	.text._ZN9rocsparseL13ellmvt_kernelILj1024EiddddEEv20rocsparse_operation_T0_S2_S2_NS_24const_host_device_scalarIT4_EEPKS2_PKT1_PKT2_PT3_21rocsparse_index_base_b,"axG",@progbits,_ZN9rocsparseL13ellmvt_kernelILj1024EiddddEEv20rocsparse_operation_T0_S2_S2_NS_24const_host_device_scalarIT4_EEPKS2_PKT1_PKT2_PT3_21rocsparse_index_base_b,comdat
	.globl	_ZN9rocsparseL13ellmvt_kernelILj1024EiddddEEv20rocsparse_operation_T0_S2_S2_NS_24const_host_device_scalarIT4_EEPKS2_PKT1_PKT2_PT3_21rocsparse_index_base_b ; -- Begin function _ZN9rocsparseL13ellmvt_kernelILj1024EiddddEEv20rocsparse_operation_T0_S2_S2_NS_24const_host_device_scalarIT4_EEPKS2_PKT1_PKT2_PT3_21rocsparse_index_base_b
	.p2align	8
	.type	_ZN9rocsparseL13ellmvt_kernelILj1024EiddddEEv20rocsparse_operation_T0_S2_S2_NS_24const_host_device_scalarIT4_EEPKS2_PKT1_PKT2_PT3_21rocsparse_index_base_b,@function
_ZN9rocsparseL13ellmvt_kernelILj1024EiddddEEv20rocsparse_operation_T0_S2_S2_NS_24const_host_device_scalarIT4_EEPKS2_PKT1_PKT2_PT3_21rocsparse_index_base_b: ; @_ZN9rocsparseL13ellmvt_kernelILj1024EiddddEEv20rocsparse_operation_T0_S2_S2_NS_24const_host_device_scalarIT4_EEPKS2_PKT1_PKT2_PT3_21rocsparse_index_base_b
; %bb.0:
	s_load_dwordx2 s[2:3], s[4:5], 0x38
	s_load_dwordx2 s[0:1], s[4:5], 0x10
	s_waitcnt lgkmcnt(0)
	s_bitcmp1_b32 s3, 0
	s_cselect_b64 s[8:9], -1, 0
	s_and_b64 vcc, exec, s[8:9]
	v_pk_mov_b32 v[2:3], s[0:1], s[0:1] op_sel:[0,1]
	s_cbranch_vccnz .LBB5_2
; %bb.1:
	v_pk_mov_b32 v[2:3], s[0:1], s[0:1] op_sel:[0,1]
	flat_load_dwordx2 v[2:3], v[2:3]
.LBB5_2:
	s_waitcnt vmcnt(0) lgkmcnt(0)
	v_cmp_neq_f64_e32 vcc, 0, v[2:3]
	s_and_saveexec_b64 s[0:1], vcc
	s_cbranch_execz .LBB5_11
; %bb.3:
	s_load_dwordx4 s[12:15], s[4:5], 0x4
	v_lshl_or_b32 v4, s6, 10, v0
	s_waitcnt lgkmcnt(0)
	v_cmp_gt_i32_e32 vcc, s12, v4
	s_and_b64 exec, exec, vcc
	s_cbranch_execz .LBB5_11
; %bb.4:
	s_cmp_lt_i32 s14, 1
	s_cbranch_scc1 .LBB5_11
; %bb.5:
	s_load_dwordx8 s[4:11], s[4:5], 0x18
	v_ashrrev_i32_e32 v5, 31, v4
	v_lshlrev_b64 v[0:1], 3, v[4:5]
	s_mov_b32 s0, s12
	s_ashr_i32 s3, s12, 31
	s_waitcnt lgkmcnt(0)
	v_mov_b32_e32 v6, s9
	v_add_co_u32_e32 v0, vcc, s8, v0
	v_addc_co_u32_e32 v1, vcc, v6, v1, vcc
	global_load_dwordx2 v[0:1], v[0:1], off
	s_mov_b32 s12, 0
	s_mov_b64 s[8:9], 0
	v_mov_b32_e32 v14, s0
	v_mov_b32_e32 v15, s5
	;; [unrolled: 1-line block ×3, first 2 shown]
                                        ; implicit-def: $sgpr16_sgpr17
	s_waitcnt vmcnt(0)
	v_mul_f64 v[6:7], v[2:3], v[0:1]
	s_branch .LBB5_7
.LBB5_6:                                ;   in Loop: Header=BB5_7 Depth=1
	s_or_b64 exec, exec, s[0:1]
	s_and_b64 s[0:1], exec, s[16:17]
	s_or_b64 s[8:9], s[0:1], s[8:9]
	s_andn2_b64 exec, exec, s[8:9]
	s_cbranch_execz .LBB5_11
.LBB5_7:                                ; =>This Loop Header: Depth=1
                                        ;     Child Loop BB5_9 Depth 2
	v_mad_u64_u32 v[0:1], s[0:1], s12, v14, v[4:5]
	s_mul_i32 s0, s12, s3
	v_add_u32_e32 v1, s0, v1
	v_lshlrev_b64 v[2:3], 2, v[0:1]
	v_add_co_u32_e32 v2, vcc, s4, v2
	v_addc_co_u32_e32 v3, vcc, v15, v3, vcc
	global_load_dword v2, v[2:3], off glc slc
	s_or_b64 s[16:17], s[16:17], exec
	s_waitcnt vmcnt(0)
	v_subrev_u32_e32 v8, s2, v2
	v_cmp_lt_i32_e32 vcc, -1, v8
	v_cmp_gt_i32_e64 s[0:1], s13, v8
	s_and_b64 s[18:19], vcc, s[0:1]
	s_and_saveexec_b64 s[0:1], s[18:19]
	s_cbranch_execz .LBB5_6
; %bb.8:                                ;   in Loop: Header=BB5_7 Depth=1
	v_lshlrev_b64 v[0:1], 3, v[0:1]
	v_mov_b32_e32 v2, s7
	v_add_co_u32_e32 v0, vcc, s6, v0
	v_addc_co_u32_e32 v1, vcc, v2, v1, vcc
	v_lshlrev_b64 v[2:3], 3, v[8:9]
	v_mov_b32_e32 v8, s11
	v_add_co_u32_e32 v10, vcc, s10, v2
	global_load_dwordx2 v[0:1], v[0:1], off glc slc
	v_addc_co_u32_e32 v11, vcc, v8, v3, vcc
	global_load_dwordx2 v[2:3], v[10:11], off
	s_mov_b64 s[18:19], 0
	s_waitcnt vmcnt(1)
	v_mul_f64 v[12:13], v[6:7], v[0:1]
.LBB5_9:                                ;   Parent Loop BB5_7 Depth=1
                                        ; =>  This Inner Loop Header: Depth=2
	s_waitcnt vmcnt(0)
	v_add_f64 v[0:1], v[2:3], v[12:13]
	global_atomic_cmpswap_x2 v[0:1], v[10:11], v[0:3], off glc
	s_waitcnt vmcnt(0)
	v_cmp_eq_u64_e32 vcc, v[0:1], v[2:3]
	s_or_b64 s[18:19], vcc, s[18:19]
	v_pk_mov_b32 v[2:3], v[0:1], v[0:1] op_sel:[0,1]
	s_andn2_b64 exec, exec, s[18:19]
	s_cbranch_execnz .LBB5_9
; %bb.10:                               ;   in Loop: Header=BB5_7 Depth=1
	s_or_b64 exec, exec, s[18:19]
	s_add_i32 s12, s12, 1
	s_cmp_eq_u32 s12, s14
	s_cselect_b64 s[18:19], -1, 0
	s_andn2_b64 s[16:17], s[16:17], exec
	s_and_b64 s[18:19], s[18:19], exec
	s_or_b64 s[16:17], s[16:17], s[18:19]
	s_branch .LBB5_6
.LBB5_11:
	s_endpgm
	.section	.rodata,"a",@progbits
	.p2align	6, 0x0
	.amdhsa_kernel _ZN9rocsparseL13ellmvt_kernelILj1024EiddddEEv20rocsparse_operation_T0_S2_S2_NS_24const_host_device_scalarIT4_EEPKS2_PKT1_PKT2_PT3_21rocsparse_index_base_b
		.amdhsa_group_segment_fixed_size 0
		.amdhsa_private_segment_fixed_size 0
		.amdhsa_kernarg_size 64
		.amdhsa_user_sgpr_count 6
		.amdhsa_user_sgpr_private_segment_buffer 1
		.amdhsa_user_sgpr_dispatch_ptr 0
		.amdhsa_user_sgpr_queue_ptr 0
		.amdhsa_user_sgpr_kernarg_segment_ptr 1
		.amdhsa_user_sgpr_dispatch_id 0
		.amdhsa_user_sgpr_flat_scratch_init 0
		.amdhsa_user_sgpr_kernarg_preload_length 0
		.amdhsa_user_sgpr_kernarg_preload_offset 0
		.amdhsa_user_sgpr_private_segment_size 0
		.amdhsa_uses_dynamic_stack 0
		.amdhsa_system_sgpr_private_segment_wavefront_offset 0
		.amdhsa_system_sgpr_workgroup_id_x 1
		.amdhsa_system_sgpr_workgroup_id_y 0
		.amdhsa_system_sgpr_workgroup_id_z 0
		.amdhsa_system_sgpr_workgroup_info 0
		.amdhsa_system_vgpr_workitem_id 0
		.amdhsa_next_free_vgpr 16
		.amdhsa_next_free_sgpr 20
		.amdhsa_accum_offset 16
		.amdhsa_reserve_vcc 1
		.amdhsa_reserve_flat_scratch 0
		.amdhsa_float_round_mode_32 0
		.amdhsa_float_round_mode_16_64 0
		.amdhsa_float_denorm_mode_32 3
		.amdhsa_float_denorm_mode_16_64 3
		.amdhsa_dx10_clamp 1
		.amdhsa_ieee_mode 1
		.amdhsa_fp16_overflow 0
		.amdhsa_tg_split 0
		.amdhsa_exception_fp_ieee_invalid_op 0
		.amdhsa_exception_fp_denorm_src 0
		.amdhsa_exception_fp_ieee_div_zero 0
		.amdhsa_exception_fp_ieee_overflow 0
		.amdhsa_exception_fp_ieee_underflow 0
		.amdhsa_exception_fp_ieee_inexact 0
		.amdhsa_exception_int_div_zero 0
	.end_amdhsa_kernel
	.section	.text._ZN9rocsparseL13ellmvt_kernelILj1024EiddddEEv20rocsparse_operation_T0_S2_S2_NS_24const_host_device_scalarIT4_EEPKS2_PKT1_PKT2_PT3_21rocsparse_index_base_b,"axG",@progbits,_ZN9rocsparseL13ellmvt_kernelILj1024EiddddEEv20rocsparse_operation_T0_S2_S2_NS_24const_host_device_scalarIT4_EEPKS2_PKT1_PKT2_PT3_21rocsparse_index_base_b,comdat
.Lfunc_end5:
	.size	_ZN9rocsparseL13ellmvt_kernelILj1024EiddddEEv20rocsparse_operation_T0_S2_S2_NS_24const_host_device_scalarIT4_EEPKS2_PKT1_PKT2_PT3_21rocsparse_index_base_b, .Lfunc_end5-_ZN9rocsparseL13ellmvt_kernelILj1024EiddddEEv20rocsparse_operation_T0_S2_S2_NS_24const_host_device_scalarIT4_EEPKS2_PKT1_PKT2_PT3_21rocsparse_index_base_b
                                        ; -- End function
	.section	.AMDGPU.csdata,"",@progbits
; Kernel info:
; codeLenInByte = 456
; NumSgprs: 24
; NumVgprs: 16
; NumAgprs: 0
; TotalNumVgprs: 16
; ScratchSize: 0
; MemoryBound: 0
; FloatMode: 240
; IeeeMode: 1
; LDSByteSize: 0 bytes/workgroup (compile time only)
; SGPRBlocks: 2
; VGPRBlocks: 1
; NumSGPRsForWavesPerEU: 24
; NumVGPRsForWavesPerEU: 16
; AccumOffset: 16
; Occupancy: 8
; WaveLimiterHint : 1
; COMPUTE_PGM_RSRC2:SCRATCH_EN: 0
; COMPUTE_PGM_RSRC2:USER_SGPR: 6
; COMPUTE_PGM_RSRC2:TRAP_HANDLER: 0
; COMPUTE_PGM_RSRC2:TGID_X_EN: 1
; COMPUTE_PGM_RSRC2:TGID_Y_EN: 0
; COMPUTE_PGM_RSRC2:TGID_Z_EN: 0
; COMPUTE_PGM_RSRC2:TIDIG_COMP_CNT: 0
; COMPUTE_PGM_RSRC3_GFX90A:ACCUM_OFFSET: 3
; COMPUTE_PGM_RSRC3_GFX90A:TG_SPLIT: 0
	.section	.text._ZN9rocsparseL13ellmvn_kernelILj512ElddddEEvT0_S1_S1_NS_24const_host_device_scalarIT4_EEPKS1_PKT1_PKT2_S4_PT3_21rocsparse_index_base_b,"axG",@progbits,_ZN9rocsparseL13ellmvn_kernelILj512ElddddEEvT0_S1_S1_NS_24const_host_device_scalarIT4_EEPKS1_PKT1_PKT2_S4_PT3_21rocsparse_index_base_b,comdat
	.globl	_ZN9rocsparseL13ellmvn_kernelILj512ElddddEEvT0_S1_S1_NS_24const_host_device_scalarIT4_EEPKS1_PKT1_PKT2_S4_PT3_21rocsparse_index_base_b ; -- Begin function _ZN9rocsparseL13ellmvn_kernelILj512ElddddEEvT0_S1_S1_NS_24const_host_device_scalarIT4_EEPKS1_PKT1_PKT2_S4_PT3_21rocsparse_index_base_b
	.p2align	8
	.type	_ZN9rocsparseL13ellmvn_kernelILj512ElddddEEvT0_S1_S1_NS_24const_host_device_scalarIT4_EEPKS1_PKT1_PKT2_S4_PT3_21rocsparse_index_base_b,@function
_ZN9rocsparseL13ellmvn_kernelILj512ElddddEEvT0_S1_S1_NS_24const_host_device_scalarIT4_EEPKS1_PKT1_PKT2_S4_PT3_21rocsparse_index_base_b: ; @_ZN9rocsparseL13ellmvn_kernelILj512ElddddEEvT0_S1_S1_NS_24const_host_device_scalarIT4_EEPKS1_PKT1_PKT2_S4_PT3_21rocsparse_index_base_b
; %bb.0:
	s_load_dwordx2 s[2:3], s[4:5], 0x48
	s_load_dwordx2 s[0:1], s[4:5], 0x38
	s_load_dwordx8 s[8:15], s[4:5], 0x0
	s_waitcnt lgkmcnt(0)
	s_bitcmp1_b32 s3, 0
	s_cselect_b64 s[18:19], -1, 0
	s_xor_b64 s[16:17], s[18:19], -1
	s_and_b64 vcc, exec, s[18:19]
	v_pk_mov_b32 v[2:3], s[14:15], s[14:15] op_sel:[0,1]
	s_cbranch_vccnz .LBB6_2
; %bb.1:
	v_pk_mov_b32 v[2:3], s[14:15], s[14:15] op_sel:[0,1]
	flat_load_dwordx2 v[2:3], v[2:3]
.LBB6_2:
	s_andn2_b64 vcc, exec, s[16:17]
	v_pk_mov_b32 v[4:5], s[0:1], s[0:1] op_sel:[0,1]
	s_cbranch_vccnz .LBB6_4
; %bb.3:
	v_pk_mov_b32 v[4:5], s[0:1], s[0:1] op_sel:[0,1]
	flat_load_dwordx2 v[4:5], v[4:5]
.LBB6_4:
	s_waitcnt vmcnt(0) lgkmcnt(0)
	v_cmp_neq_f64_e32 vcc, 0, v[2:3]
	v_cmp_neq_f64_e64 s[0:1], 1.0, v[4:5]
	s_or_b64 s[0:1], vcc, s[0:1]
	s_and_saveexec_b64 s[14:15], s[0:1]
	s_cbranch_execz .LBB6_15
; %bb.5:
	v_lshl_or_b32 v0, s6, 9, v0
	v_mov_b32_e32 v1, 0
	v_cmp_gt_i64_e32 vcc, s[8:9], v[0:1]
	s_and_b64 exec, exec, vcc
	s_cbranch_execz .LBB6_15
; %bb.6:
	s_load_dwordx2 s[6:7], s[4:5], 0x40
	v_cmp_lt_i64_e64 s[0:1], s[12:13], 1
	s_and_b64 vcc, exec, s[0:1]
	v_lshlrev_b64 v[0:1], 3, v[0:1]
	s_cbranch_vccnz .LBB6_16
; %bb.7:
	s_load_dwordx4 s[16:19], s[4:5], 0x20
	s_load_dwordx2 s[14:15], s[4:5], 0x30
	s_add_u32 s4, s12, -1
	s_mov_b32 s0, 0
	s_addc_u32 s5, s13, -1
	s_lshl_b64 s[12:13], s[8:9], 3
	s_mov_b64 s[8:9], 0
	v_pk_mov_b32 v[6:7], 0, 0
	s_waitcnt lgkmcnt(0)
	v_mov_b32_e32 v12, s17
	v_mov_b32_e32 v13, s0
	v_mov_b32_e32 v14, s13
	v_pk_mov_b32 v[8:9], v[0:1], v[0:1] op_sel:[0,1]
	s_branch .LBB6_9
.LBB6_8:                                ;   in Loop: Header=BB6_9 Depth=1
	s_or_b64 exec, exec, s[20:21]
	s_cmp_eq_u64 s[4:5], 0
	s_cselect_b64 s[20:21], -1, 0
	s_or_b64 s[0:1], s[0:1], s[20:21]
	s_add_u32 s4, s4, -1
	s_addc_u32 s5, s5, -1
	s_and_b64 s[0:1], exec, s[0:1]
	v_add_co_u32_e32 v8, vcc, s12, v8
	s_or_b64 s[8:9], s[0:1], s[8:9]
	v_addc_co_u32_e32 v9, vcc, v9, v14, vcc
	s_andn2_b64 exec, exec, s[8:9]
	s_cbranch_execz .LBB6_11
.LBB6_9:                                ; =>This Inner Loop Header: Depth=1
	v_add_co_u32_e32 v10, vcc, s16, v8
	v_addc_co_u32_e32 v11, vcc, v12, v9, vcc
	global_load_dwordx2 v[10:11], v[10:11], off glc slc
	s_waitcnt vmcnt(0)
	v_subrev_co_u32_e32 v10, vcc, s2, v10
	v_subb_co_u32_e32 v11, vcc, v11, v13, vcc
	v_cmp_gt_i64_e32 vcc, 0, v[10:11]
	v_cmp_le_i64_e64 s[0:1], s[10:11], v[10:11]
	s_or_b64 s[0:1], vcc, s[0:1]
	s_xor_b64 s[22:23], s[0:1], -1
	s_and_saveexec_b64 s[20:21], s[22:23]
	s_cbranch_execz .LBB6_8
; %bb.10:                               ;   in Loop: Header=BB6_9 Depth=1
	v_mov_b32_e32 v15, s19
	v_add_co_u32_e32 v16, vcc, s18, v8
	v_addc_co_u32_e32 v17, vcc, v15, v9, vcc
	v_lshlrev_b64 v[10:11], 3, v[10:11]
	v_mov_b32_e32 v15, s15
	v_add_co_u32_e32 v10, vcc, s14, v10
	v_addc_co_u32_e32 v11, vcc, v15, v11, vcc
	global_load_dwordx2 v[18:19], v[16:17], off glc slc
	global_load_dwordx2 v[20:21], v[10:11], off
	s_waitcnt vmcnt(0)
	v_fmac_f64_e32 v[6:7], v[18:19], v[20:21]
	s_branch .LBB6_8
.LBB6_11:
	s_or_b64 exec, exec, s[8:9]
	v_cmp_eq_f64_e32 vcc, 0, v[4:5]
	s_and_saveexec_b64 s[0:1], vcc
	s_xor_b64 s[0:1], exec, s[0:1]
	s_cbranch_execz .LBB6_13
.LBB6_12:
	s_waitcnt lgkmcnt(0)
	v_mov_b32_e32 v4, s7
	v_add_co_u32_e32 v0, vcc, s6, v0
	v_mul_f64 v[2:3], v[2:3], v[6:7]
	v_addc_co_u32_e32 v1, vcc, v4, v1, vcc
	global_store_dwordx2 v[0:1], v[2:3], off glc slc
                                        ; implicit-def: $vgpr0_vgpr1
                                        ; implicit-def: $vgpr2_vgpr3
                                        ; implicit-def: $vgpr6_vgpr7
                                        ; implicit-def: $vgpr4_vgpr5
.LBB6_13:
	s_andn2_saveexec_b64 s[0:1], s[0:1]
	s_cbranch_execz .LBB6_15
; %bb.14:
	s_waitcnt lgkmcnt(0)
	v_mov_b32_e32 v8, s7
	v_add_co_u32_e32 v0, vcc, s6, v0
	v_addc_co_u32_e32 v1, vcc, v8, v1, vcc
	global_load_dwordx2 v[8:9], v[0:1], off glc slc
	v_mul_f64 v[2:3], v[2:3], v[6:7]
	s_waitcnt vmcnt(0)
	v_fmac_f64_e32 v[2:3], v[4:5], v[8:9]
	global_store_dwordx2 v[0:1], v[2:3], off glc slc
.LBB6_15:
	s_endpgm
.LBB6_16:
	v_pk_mov_b32 v[6:7], 0, 0
	v_cmp_eq_f64_e32 vcc, 0, v[4:5]
	s_and_saveexec_b64 s[0:1], vcc
	s_xor_b64 s[0:1], exec, s[0:1]
	s_cbranch_execnz .LBB6_12
	s_branch .LBB6_13
	.section	.rodata,"a",@progbits
	.p2align	6, 0x0
	.amdhsa_kernel _ZN9rocsparseL13ellmvn_kernelILj512ElddddEEvT0_S1_S1_NS_24const_host_device_scalarIT4_EEPKS1_PKT1_PKT2_S4_PT3_21rocsparse_index_base_b
		.amdhsa_group_segment_fixed_size 0
		.amdhsa_private_segment_fixed_size 0
		.amdhsa_kernarg_size 80
		.amdhsa_user_sgpr_count 6
		.amdhsa_user_sgpr_private_segment_buffer 1
		.amdhsa_user_sgpr_dispatch_ptr 0
		.amdhsa_user_sgpr_queue_ptr 0
		.amdhsa_user_sgpr_kernarg_segment_ptr 1
		.amdhsa_user_sgpr_dispatch_id 0
		.amdhsa_user_sgpr_flat_scratch_init 0
		.amdhsa_user_sgpr_kernarg_preload_length 0
		.amdhsa_user_sgpr_kernarg_preload_offset 0
		.amdhsa_user_sgpr_private_segment_size 0
		.amdhsa_uses_dynamic_stack 0
		.amdhsa_system_sgpr_private_segment_wavefront_offset 0
		.amdhsa_system_sgpr_workgroup_id_x 1
		.amdhsa_system_sgpr_workgroup_id_y 0
		.amdhsa_system_sgpr_workgroup_id_z 0
		.amdhsa_system_sgpr_workgroup_info 0
		.amdhsa_system_vgpr_workitem_id 0
		.amdhsa_next_free_vgpr 22
		.amdhsa_next_free_sgpr 24
		.amdhsa_accum_offset 24
		.amdhsa_reserve_vcc 1
		.amdhsa_reserve_flat_scratch 0
		.amdhsa_float_round_mode_32 0
		.amdhsa_float_round_mode_16_64 0
		.amdhsa_float_denorm_mode_32 3
		.amdhsa_float_denorm_mode_16_64 3
		.amdhsa_dx10_clamp 1
		.amdhsa_ieee_mode 1
		.amdhsa_fp16_overflow 0
		.amdhsa_tg_split 0
		.amdhsa_exception_fp_ieee_invalid_op 0
		.amdhsa_exception_fp_denorm_src 0
		.amdhsa_exception_fp_ieee_div_zero 0
		.amdhsa_exception_fp_ieee_overflow 0
		.amdhsa_exception_fp_ieee_underflow 0
		.amdhsa_exception_fp_ieee_inexact 0
		.amdhsa_exception_int_div_zero 0
	.end_amdhsa_kernel
	.section	.text._ZN9rocsparseL13ellmvn_kernelILj512ElddddEEvT0_S1_S1_NS_24const_host_device_scalarIT4_EEPKS1_PKT1_PKT2_S4_PT3_21rocsparse_index_base_b,"axG",@progbits,_ZN9rocsparseL13ellmvn_kernelILj512ElddddEEvT0_S1_S1_NS_24const_host_device_scalarIT4_EEPKS1_PKT1_PKT2_S4_PT3_21rocsparse_index_base_b,comdat
.Lfunc_end6:
	.size	_ZN9rocsparseL13ellmvn_kernelILj512ElddddEEvT0_S1_S1_NS_24const_host_device_scalarIT4_EEPKS1_PKT1_PKT2_S4_PT3_21rocsparse_index_base_b, .Lfunc_end6-_ZN9rocsparseL13ellmvn_kernelILj512ElddddEEvT0_S1_S1_NS_24const_host_device_scalarIT4_EEPKS1_PKT1_PKT2_S4_PT3_21rocsparse_index_base_b
                                        ; -- End function
	.section	.AMDGPU.csdata,"",@progbits
; Kernel info:
; codeLenInByte = 564
; NumSgprs: 28
; NumVgprs: 22
; NumAgprs: 0
; TotalNumVgprs: 22
; ScratchSize: 0
; MemoryBound: 1
; FloatMode: 240
; IeeeMode: 1
; LDSByteSize: 0 bytes/workgroup (compile time only)
; SGPRBlocks: 3
; VGPRBlocks: 2
; NumSGPRsForWavesPerEU: 28
; NumVGPRsForWavesPerEU: 22
; AccumOffset: 24
; Occupancy: 8
; WaveLimiterHint : 1
; COMPUTE_PGM_RSRC2:SCRATCH_EN: 0
; COMPUTE_PGM_RSRC2:USER_SGPR: 6
; COMPUTE_PGM_RSRC2:TRAP_HANDLER: 0
; COMPUTE_PGM_RSRC2:TGID_X_EN: 1
; COMPUTE_PGM_RSRC2:TGID_Y_EN: 0
; COMPUTE_PGM_RSRC2:TGID_Z_EN: 0
; COMPUTE_PGM_RSRC2:TIDIG_COMP_CNT: 0
; COMPUTE_PGM_RSRC3_GFX90A:ACCUM_OFFSET: 5
; COMPUTE_PGM_RSRC3_GFX90A:TG_SPLIT: 0
	.section	.text._ZN9rocsparseL13ellmvt_kernelILj1024ElddddEEv20rocsparse_operation_T0_S2_S2_NS_24const_host_device_scalarIT4_EEPKS2_PKT1_PKT2_PT3_21rocsparse_index_base_b,"axG",@progbits,_ZN9rocsparseL13ellmvt_kernelILj1024ElddddEEv20rocsparse_operation_T0_S2_S2_NS_24const_host_device_scalarIT4_EEPKS2_PKT1_PKT2_PT3_21rocsparse_index_base_b,comdat
	.globl	_ZN9rocsparseL13ellmvt_kernelILj1024ElddddEEv20rocsparse_operation_T0_S2_S2_NS_24const_host_device_scalarIT4_EEPKS2_PKT1_PKT2_PT3_21rocsparse_index_base_b ; -- Begin function _ZN9rocsparseL13ellmvt_kernelILj1024ElddddEEv20rocsparse_operation_T0_S2_S2_NS_24const_host_device_scalarIT4_EEPKS2_PKT1_PKT2_PT3_21rocsparse_index_base_b
	.p2align	8
	.type	_ZN9rocsparseL13ellmvt_kernelILj1024ElddddEEv20rocsparse_operation_T0_S2_S2_NS_24const_host_device_scalarIT4_EEPKS2_PKT1_PKT2_PT3_21rocsparse_index_base_b,@function
_ZN9rocsparseL13ellmvt_kernelILj1024ElddddEEv20rocsparse_operation_T0_S2_S2_NS_24const_host_device_scalarIT4_EEPKS2_PKT1_PKT2_PT3_21rocsparse_index_base_b: ; @_ZN9rocsparseL13ellmvt_kernelILj1024ElddddEEv20rocsparse_operation_T0_S2_S2_NS_24const_host_device_scalarIT4_EEPKS2_PKT1_PKT2_PT3_21rocsparse_index_base_b
; %bb.0:
	s_load_dwordx2 s[2:3], s[4:5], 0x48
	s_load_dwordx8 s[8:15], s[4:5], 0x8
	s_waitcnt lgkmcnt(0)
	s_bitcmp1_b32 s3, 0
	s_cselect_b64 s[0:1], -1, 0
	s_and_b64 vcc, exec, s[0:1]
	v_pk_mov_b32 v[2:3], s[14:15], s[14:15] op_sel:[0,1]
	s_cbranch_vccnz .LBB7_2
; %bb.1:
	v_pk_mov_b32 v[2:3], s[14:15], s[14:15] op_sel:[0,1]
	flat_load_dwordx2 v[2:3], v[2:3]
.LBB7_2:
	s_waitcnt vmcnt(0) lgkmcnt(0)
	v_cmp_neq_f64_e32 vcc, 0, v[2:3]
	s_and_saveexec_b64 s[0:1], vcc
	s_cbranch_execz .LBB7_11
; %bb.3:
	v_lshl_or_b32 v4, s6, 10, v0
	v_mov_b32_e32 v5, 0
	v_cmp_gt_i64_e32 vcc, s[8:9], v[4:5]
	s_and_b64 exec, exec, vcc
	s_cbranch_execz .LBB7_11
; %bb.4:
	v_cmp_lt_i64_e64 s[0:1], s[12:13], 1
	s_and_b64 vcc, exec, s[0:1]
	s_cbranch_vccnz .LBB7_11
; %bb.5:
	s_load_dwordx8 s[16:23], s[4:5], 0x28
	v_lshlrev_b64 v[0:1], 3, v[4:5]
	s_mov_b32 s0, 0
	s_mov_b64 s[4:5], 0
	v_mov_b32_e32 v12, s8
	s_waitcnt lgkmcnt(0)
	v_mov_b32_e32 v6, s21
	v_add_co_u32_e32 v0, vcc, s20, v0
	v_addc_co_u32_e32 v1, vcc, v6, v1, vcc
	global_load_dwordx2 v[0:1], v[0:1], off
	v_mov_b32_e32 v13, s0
	v_mov_b32_e32 v14, s17
	s_mov_b64 s[14:15], 0
                                        ; implicit-def: $sgpr6_sgpr7
	s_waitcnt vmcnt(0)
	v_mul_f64 v[6:7], v[2:3], v[0:1]
	s_branch .LBB7_7
.LBB7_6:                                ;   in Loop: Header=BB7_7 Depth=1
	s_or_b64 exec, exec, s[0:1]
	s_and_b64 s[0:1], exec, s[6:7]
	s_or_b64 s[4:5], s[0:1], s[4:5]
	s_andn2_b64 exec, exec, s[4:5]
	s_cbranch_execz .LBB7_11
.LBB7_7:                                ; =>This Loop Header: Depth=1
                                        ;     Child Loop BB7_9 Depth 2
	s_mul_i32 s0, s15, s8
	s_mul_i32 s1, s14, s9
	s_add_i32 s3, s1, s0
	v_mad_u64_u32 v[0:1], s[0:1], s14, v12, v[4:5]
	v_add_u32_e32 v1, s3, v1
	v_lshlrev_b64 v[0:1], 3, v[0:1]
	v_add_co_u32_e32 v2, vcc, s16, v0
	v_addc_co_u32_e32 v3, vcc, v14, v1, vcc
	global_load_dwordx2 v[2:3], v[2:3], off glc slc
	s_or_b64 s[6:7], s[6:7], exec
	s_waitcnt vmcnt(0)
	v_subrev_co_u32_e32 v2, vcc, s2, v2
	v_subb_co_u32_e32 v3, vcc, v3, v13, vcc
	v_cmp_lt_i64_e32 vcc, -1, v[2:3]
	v_cmp_gt_i64_e64 s[0:1], s[10:11], v[2:3]
	s_and_b64 s[20:21], vcc, s[0:1]
	s_and_saveexec_b64 s[0:1], s[20:21]
	s_cbranch_execz .LBB7_6
; %bb.8:                                ;   in Loop: Header=BB7_7 Depth=1
	v_mov_b32_e32 v8, s19
	v_add_co_u32_e32 v0, vcc, s18, v0
	v_addc_co_u32_e32 v1, vcc, v8, v1, vcc
	v_lshlrev_b64 v[2:3], 3, v[2:3]
	v_mov_b32_e32 v9, s23
	v_add_co_u32_e32 v8, vcc, s22, v2
	global_load_dwordx2 v[0:1], v[0:1], off glc slc
	v_addc_co_u32_e32 v9, vcc, v9, v3, vcc
	global_load_dwordx2 v[2:3], v[8:9], off
	s_mov_b64 s[20:21], 0
	s_waitcnt vmcnt(1)
	v_mul_f64 v[10:11], v[6:7], v[0:1]
.LBB7_9:                                ;   Parent Loop BB7_7 Depth=1
                                        ; =>  This Inner Loop Header: Depth=2
	s_waitcnt vmcnt(0)
	v_add_f64 v[0:1], v[2:3], v[10:11]
	global_atomic_cmpswap_x2 v[0:1], v[8:9], v[0:3], off glc
	s_waitcnt vmcnt(0)
	v_cmp_eq_u64_e32 vcc, v[0:1], v[2:3]
	s_or_b64 s[20:21], vcc, s[20:21]
	v_pk_mov_b32 v[2:3], v[0:1], v[0:1] op_sel:[0,1]
	s_andn2_b64 exec, exec, s[20:21]
	s_cbranch_execnz .LBB7_9
; %bb.10:                               ;   in Loop: Header=BB7_7 Depth=1
	s_or_b64 exec, exec, s[20:21]
	s_add_u32 s14, s14, 1
	s_addc_u32 s15, s15, 0
	s_cmp_eq_u64 s[14:15], s[12:13]
	s_cselect_b64 s[20:21], -1, 0
	s_andn2_b64 s[6:7], s[6:7], exec
	s_and_b64 s[20:21], s[20:21], exec
	s_or_b64 s[6:7], s[6:7], s[20:21]
	s_branch .LBB7_6
.LBB7_11:
	s_endpgm
	.section	.rodata,"a",@progbits
	.p2align	6, 0x0
	.amdhsa_kernel _ZN9rocsparseL13ellmvt_kernelILj1024ElddddEEv20rocsparse_operation_T0_S2_S2_NS_24const_host_device_scalarIT4_EEPKS2_PKT1_PKT2_PT3_21rocsparse_index_base_b
		.amdhsa_group_segment_fixed_size 0
		.amdhsa_private_segment_fixed_size 0
		.amdhsa_kernarg_size 80
		.amdhsa_user_sgpr_count 6
		.amdhsa_user_sgpr_private_segment_buffer 1
		.amdhsa_user_sgpr_dispatch_ptr 0
		.amdhsa_user_sgpr_queue_ptr 0
		.amdhsa_user_sgpr_kernarg_segment_ptr 1
		.amdhsa_user_sgpr_dispatch_id 0
		.amdhsa_user_sgpr_flat_scratch_init 0
		.amdhsa_user_sgpr_kernarg_preload_length 0
		.amdhsa_user_sgpr_kernarg_preload_offset 0
		.amdhsa_user_sgpr_private_segment_size 0
		.amdhsa_uses_dynamic_stack 0
		.amdhsa_system_sgpr_private_segment_wavefront_offset 0
		.amdhsa_system_sgpr_workgroup_id_x 1
		.amdhsa_system_sgpr_workgroup_id_y 0
		.amdhsa_system_sgpr_workgroup_id_z 0
		.amdhsa_system_sgpr_workgroup_info 0
		.amdhsa_system_vgpr_workitem_id 0
		.amdhsa_next_free_vgpr 15
		.amdhsa_next_free_sgpr 24
		.amdhsa_accum_offset 16
		.amdhsa_reserve_vcc 1
		.amdhsa_reserve_flat_scratch 0
		.amdhsa_float_round_mode_32 0
		.amdhsa_float_round_mode_16_64 0
		.amdhsa_float_denorm_mode_32 3
		.amdhsa_float_denorm_mode_16_64 3
		.amdhsa_dx10_clamp 1
		.amdhsa_ieee_mode 1
		.amdhsa_fp16_overflow 0
		.amdhsa_tg_split 0
		.amdhsa_exception_fp_ieee_invalid_op 0
		.amdhsa_exception_fp_denorm_src 0
		.amdhsa_exception_fp_ieee_div_zero 0
		.amdhsa_exception_fp_ieee_overflow 0
		.amdhsa_exception_fp_ieee_underflow 0
		.amdhsa_exception_fp_ieee_inexact 0
		.amdhsa_exception_int_div_zero 0
	.end_amdhsa_kernel
	.section	.text._ZN9rocsparseL13ellmvt_kernelILj1024ElddddEEv20rocsparse_operation_T0_S2_S2_NS_24const_host_device_scalarIT4_EEPKS2_PKT1_PKT2_PT3_21rocsparse_index_base_b,"axG",@progbits,_ZN9rocsparseL13ellmvt_kernelILj1024ElddddEEv20rocsparse_operation_T0_S2_S2_NS_24const_host_device_scalarIT4_EEPKS2_PKT1_PKT2_PT3_21rocsparse_index_base_b,comdat
.Lfunc_end7:
	.size	_ZN9rocsparseL13ellmvt_kernelILj1024ElddddEEv20rocsparse_operation_T0_S2_S2_NS_24const_host_device_scalarIT4_EEPKS2_PKT1_PKT2_PT3_21rocsparse_index_base_b, .Lfunc_end7-_ZN9rocsparseL13ellmvt_kernelILj1024ElddddEEv20rocsparse_operation_T0_S2_S2_NS_24const_host_device_scalarIT4_EEPKS2_PKT1_PKT2_PT3_21rocsparse_index_base_b
                                        ; -- End function
	.section	.AMDGPU.csdata,"",@progbits
; Kernel info:
; codeLenInByte = 456
; NumSgprs: 28
; NumVgprs: 15
; NumAgprs: 0
; TotalNumVgprs: 15
; ScratchSize: 0
; MemoryBound: 0
; FloatMode: 240
; IeeeMode: 1
; LDSByteSize: 0 bytes/workgroup (compile time only)
; SGPRBlocks: 3
; VGPRBlocks: 1
; NumSGPRsForWavesPerEU: 28
; NumVGPRsForWavesPerEU: 15
; AccumOffset: 16
; Occupancy: 8
; WaveLimiterHint : 1
; COMPUTE_PGM_RSRC2:SCRATCH_EN: 0
; COMPUTE_PGM_RSRC2:USER_SGPR: 6
; COMPUTE_PGM_RSRC2:TRAP_HANDLER: 0
; COMPUTE_PGM_RSRC2:TGID_X_EN: 1
; COMPUTE_PGM_RSRC2:TGID_Y_EN: 0
; COMPUTE_PGM_RSRC2:TGID_Z_EN: 0
; COMPUTE_PGM_RSRC2:TIDIG_COMP_CNT: 0
; COMPUTE_PGM_RSRC3_GFX90A:ACCUM_OFFSET: 3
; COMPUTE_PGM_RSRC3_GFX90A:TG_SPLIT: 0
	.section	.text._ZN9rocsparseL13ellmvn_kernelILj512Ei21rocsparse_complex_numIfES2_S2_S2_EEvT0_S3_S3_NS_24const_host_device_scalarIT4_EEPKS3_PKT1_PKT2_S6_PT3_21rocsparse_index_base_b,"axG",@progbits,_ZN9rocsparseL13ellmvn_kernelILj512Ei21rocsparse_complex_numIfES2_S2_S2_EEvT0_S3_S3_NS_24const_host_device_scalarIT4_EEPKS3_PKT1_PKT2_S6_PT3_21rocsparse_index_base_b,comdat
	.globl	_ZN9rocsparseL13ellmvn_kernelILj512Ei21rocsparse_complex_numIfES2_S2_S2_EEvT0_S3_S3_NS_24const_host_device_scalarIT4_EEPKS3_PKT1_PKT2_S6_PT3_21rocsparse_index_base_b ; -- Begin function _ZN9rocsparseL13ellmvn_kernelILj512Ei21rocsparse_complex_numIfES2_S2_S2_EEvT0_S3_S3_NS_24const_host_device_scalarIT4_EEPKS3_PKT1_PKT2_S6_PT3_21rocsparse_index_base_b
	.p2align	8
	.type	_ZN9rocsparseL13ellmvn_kernelILj512Ei21rocsparse_complex_numIfES2_S2_S2_EEvT0_S3_S3_NS_24const_host_device_scalarIT4_EEPKS3_PKT1_PKT2_S6_PT3_21rocsparse_index_base_b,@function
_ZN9rocsparseL13ellmvn_kernelILj512Ei21rocsparse_complex_numIfES2_S2_S2_EEvT0_S3_S3_NS_24const_host_device_scalarIT4_EEPKS3_PKT1_PKT2_S6_PT3_21rocsparse_index_base_b: ; @_ZN9rocsparseL13ellmvn_kernelILj512Ei21rocsparse_complex_numIfES2_S2_S2_EEvT0_S3_S3_NS_24const_host_device_scalarIT4_EEPKS3_PKT1_PKT2_S6_PT3_21rocsparse_index_base_b
; %bb.0:
	s_load_dwordx2 s[2:3], s[4:5], 0x40
	s_load_dwordx2 s[10:11], s[4:5], 0x10
	;; [unrolled: 1-line block ×3, first 2 shown]
	s_waitcnt lgkmcnt(0)
	s_bitcmp1_b32 s3, 0
	s_cselect_b64 s[0:1], -1, 0
	s_xor_b64 s[12:13], s[0:1], -1
	s_and_b64 vcc, exec, s[0:1]
	v_mov_b32_e32 v2, s10
	s_cbranch_vccnz .LBB8_2
; %bb.1:
	v_pk_mov_b32 v[2:3], s[10:11], s[10:11] op_sel:[0,1]
	flat_load_dword v2, v[2:3]
.LBB8_2:
	v_cndmask_b32_e64 v1, 0, 1, s[12:13]
	v_cmp_ne_u32_e64 s[0:1], 1, v1
	s_andn2_b64 vcc, exec, s[12:13]
	v_mov_b32_e32 v3, s11
	s_cbranch_vccz .LBB8_15
; %bb.3:
	s_and_b64 vcc, exec, s[0:1]
	v_mov_b32_e32 v4, s8
	s_cbranch_vccz .LBB8_16
.LBB8_4:
	s_and_b64 vcc, exec, s[0:1]
	v_mov_b32_e32 v5, s9
	s_cbranch_vccnz .LBB8_6
.LBB8_5:
	v_pk_mov_b32 v[6:7], s[8:9], s[8:9] op_sel:[0,1]
	flat_load_dword v5, v[6:7] offset:4
.LBB8_6:
	s_waitcnt vmcnt(0) lgkmcnt(0)
	v_and_b32_e32 v1, 0x7fffffff, v2
	v_cmp_eq_u32_e32 vcc, 0, v1
	v_cmp_eq_f32_e64 s[0:1], 0, v3
	s_and_b64 s[10:11], vcc, s[0:1]
	s_mov_b64 s[0:1], -1
	s_and_saveexec_b64 s[8:9], s[10:11]
; %bb.7:
	v_and_b32_e32 v1, 0x7fffffff, v5
	v_cmp_neq_f32_e32 vcc, 1.0, v4
	v_cmp_ne_u32_e64 s[0:1], 0, v1
	s_or_b64 s[0:1], vcc, s[0:1]
	s_orn2_b64 s[0:1], s[0:1], exec
; %bb.8:
	s_or_b64 exec, exec, s[8:9]
	s_and_saveexec_b64 s[8:9], s[0:1]
	s_cbranch_execz .LBB8_22
; %bb.9:
	s_load_dwordx4 s[8:11], s[4:5], 0x0
	v_lshl_or_b32 v0, s6, 9, v0
	s_waitcnt lgkmcnt(0)
	v_cmp_gt_i32_e32 vcc, s8, v0
	s_and_b64 exec, exec, vcc
	s_cbranch_execz .LBB8_22
; %bb.10:
	s_load_dwordx2 s[6:7], s[4:5], 0x38
	v_mov_b32_e32 v7, 0
	s_cmp_lt_i32 s10, 1
	v_ashrrev_i32_e32 v1, 31, v0
	v_mov_b32_e32 v6, v7
	s_cbranch_scc1 .LBB8_18
; %bb.11:
	s_load_dwordx4 s[16:19], s[4:5], 0x18
	s_load_dwordx2 s[12:13], s[4:5], 0x28
	v_lshlrev_b64 v[6:7], 2, v[0:1]
	s_ashr_i32 s1, s8, 31
	s_mov_b32 s0, s8
	s_waitcnt lgkmcnt(0)
	v_mov_b32_e32 v9, s17
	v_add_co_u32_e32 v8, vcc, s16, v6
	v_addc_co_u32_e32 v9, vcc, v9, v7, vcc
	v_lshlrev_b64 v[6:7], 3, v[0:1]
	v_mov_b32_e32 v11, s19
	v_add_co_u32_e32 v10, vcc, s18, v6
	v_mov_b32_e32 v6, 0
	s_lshl_b64 s[4:5], s[0:1], 2
	v_addc_co_u32_e32 v11, vcc, v11, v7, vcc
	s_lshl_b64 s[16:17], s[0:1], 3
	s_mov_b64 s[14:15], 0
	v_mov_b32_e32 v13, 0
	v_mov_b32_e32 v7, v6
                                        ; implicit-def: $sgpr18_sgpr19
	s_branch .LBB8_13
.LBB8_12:                               ;   in Loop: Header=BB8_13 Depth=1
	s_or_b64 exec, exec, s[0:1]
	s_and_b64 s[0:1], exec, s[18:19]
	s_or_b64 s[14:15], s[0:1], s[14:15]
	s_andn2_b64 exec, exec, s[14:15]
	s_cbranch_execz .LBB8_17
.LBB8_13:                               ; =>This Inner Loop Header: Depth=1
	global_load_dword v12, v[8:9], off glc slc
	s_or_b64 s[18:19], s[18:19], exec
	s_waitcnt vmcnt(0)
	v_subrev_u32_e32 v12, s2, v12
	v_cmp_lt_i32_e32 vcc, -1, v12
	v_cmp_gt_i32_e64 s[0:1], s9, v12
	s_and_b64 s[20:21], vcc, s[0:1]
	s_and_saveexec_b64 s[0:1], s[20:21]
	s_cbranch_execz .LBB8_12
; %bb.14:                               ;   in Loop: Header=BB8_13 Depth=1
	v_lshlrev_b64 v[14:15], 3, v[12:13]
	v_mov_b32_e32 v12, s13
	v_add_co_u32_e32 v14, vcc, s12, v14
	v_addc_co_u32_e32 v15, vcc, v12, v15, vcc
	global_load_dwordx2 v[16:17], v[10:11], off glc slc
	global_load_dwordx2 v[18:19], v[14:15], off
	s_add_i32 s10, s10, -1
	v_mov_b32_e32 v12, s5
	v_add_co_u32_e32 v8, vcc, s4, v8
	s_cmp_eq_u32 s10, 0
	v_addc_co_u32_e32 v9, vcc, v9, v12, vcc
	s_cselect_b64 s[20:21], -1, 0
	v_mov_b32_e32 v14, s17
	v_add_co_u32_e32 v10, vcc, s16, v10
	s_andn2_b64 s[18:19], s[18:19], exec
	s_and_b64 s[20:21], s[20:21], exec
	v_addc_co_u32_e32 v11, vcc, v11, v14, vcc
	s_or_b64 s[18:19], s[18:19], s[20:21]
	s_waitcnt vmcnt(0)
	v_pk_fma_f32 v[6:7], v[16:17], v[18:19], v[6:7] op_sel_hi:[1,0,1]
	v_pk_fma_f32 v[6:7], v[16:17], v[18:19], v[6:7] op_sel:[1,1,0] op_sel_hi:[0,1,1] neg_lo:[1,0,0]
	s_branch .LBB8_12
.LBB8_15:
	v_pk_mov_b32 v[4:5], s[10:11], s[10:11] op_sel:[0,1]
	flat_load_dword v3, v[4:5] offset:4
	s_and_b64 vcc, exec, s[0:1]
	v_mov_b32_e32 v4, s8
	s_cbranch_vccnz .LBB8_4
.LBB8_16:
	v_pk_mov_b32 v[4:5], s[8:9], s[8:9] op_sel:[0,1]
	flat_load_dword v4, v[4:5]
	s_and_b64 vcc, exec, s[0:1]
	v_mov_b32_e32 v5, s9
	s_cbranch_vccz .LBB8_5
	s_branch .LBB8_6
.LBB8_17:
	s_or_b64 exec, exec, s[14:15]
.LBB8_18:
	v_and_b32_e32 v8, 0x7fffffff, v4
	v_cmp_eq_u32_e32 vcc, 0, v8
	v_cmp_eq_f32_e64 s[0:1], 0, v5
	s_and_b64 s[0:1], vcc, s[0:1]
	s_and_saveexec_b64 s[2:3], s[0:1]
	s_xor_b64 s[0:1], exec, s[2:3]
	s_cbranch_execz .LBB8_20
; %bb.19:
	v_lshlrev_b64 v[0:1], 3, v[0:1]
	s_waitcnt lgkmcnt(0)
	v_mov_b32_e32 v5, s7
	v_add_co_u32_e32 v0, vcc, s6, v0
	v_xor_b32_e32 v4, 0x80000000, v3
	v_addc_co_u32_e32 v1, vcc, v5, v1, vcc
	v_mov_b32_e32 v5, v2
	v_pk_mul_f32 v[4:5], v[6:7], v[4:5] op_sel:[1,0]
	v_pk_fma_f32 v[2:3], v[2:3], v[6:7], v[4:5] op_sel_hi:[1,0,1]
	global_store_dwordx2 v[0:1], v[2:3], off glc slc
                                        ; implicit-def: $vgpr4
                                        ; implicit-def: $vgpr0
                                        ; implicit-def: $vgpr3
                                        ; implicit-def: $vgpr6_vgpr7
.LBB8_20:
	s_andn2_saveexec_b64 s[0:1], s[0:1]
	s_cbranch_execz .LBB8_22
; %bb.21:
	v_lshlrev_b64 v[0:1], 3, v[0:1]
	s_waitcnt lgkmcnt(0)
	v_mov_b32_e32 v8, s7
	v_add_co_u32_e32 v0, vcc, s6, v0
	v_addc_co_u32_e32 v1, vcc, v8, v1, vcc
	global_load_dwordx2 v[8:9], v[0:1], off glc slc
	v_xor_b32_e32 v10, 0x80000000, v3
	v_mov_b32_e32 v11, v2
	v_pk_mul_f32 v[10:11], v[6:7], v[10:11] op_sel:[1,0]
	v_pk_fma_f32 v[2:3], v[2:3], v[6:7], v[10:11] op_sel_hi:[1,0,1]
	v_xor_b32_e32 v12, 0x80000000, v5
	v_mov_b32_e32 v13, v4
	s_waitcnt vmcnt(0)
	v_pk_fma_f32 v[2:3], v[4:5], v[8:9], v[2:3] op_sel_hi:[1,0,1]
	v_pk_fma_f32 v[2:3], v[12:13], v[8:9], v[2:3] op_sel:[0,1,0]
	global_store_dwordx2 v[0:1], v[2:3], off glc slc
.LBB8_22:
	s_endpgm
	.section	.rodata,"a",@progbits
	.p2align	6, 0x0
	.amdhsa_kernel _ZN9rocsparseL13ellmvn_kernelILj512Ei21rocsparse_complex_numIfES2_S2_S2_EEvT0_S3_S3_NS_24const_host_device_scalarIT4_EEPKS3_PKT1_PKT2_S6_PT3_21rocsparse_index_base_b
		.amdhsa_group_segment_fixed_size 0
		.amdhsa_private_segment_fixed_size 0
		.amdhsa_kernarg_size 72
		.amdhsa_user_sgpr_count 6
		.amdhsa_user_sgpr_private_segment_buffer 1
		.amdhsa_user_sgpr_dispatch_ptr 0
		.amdhsa_user_sgpr_queue_ptr 0
		.amdhsa_user_sgpr_kernarg_segment_ptr 1
		.amdhsa_user_sgpr_dispatch_id 0
		.amdhsa_user_sgpr_flat_scratch_init 0
		.amdhsa_user_sgpr_kernarg_preload_length 0
		.amdhsa_user_sgpr_kernarg_preload_offset 0
		.amdhsa_user_sgpr_private_segment_size 0
		.amdhsa_uses_dynamic_stack 0
		.amdhsa_system_sgpr_private_segment_wavefront_offset 0
		.amdhsa_system_sgpr_workgroup_id_x 1
		.amdhsa_system_sgpr_workgroup_id_y 0
		.amdhsa_system_sgpr_workgroup_id_z 0
		.amdhsa_system_sgpr_workgroup_info 0
		.amdhsa_system_vgpr_workitem_id 0
		.amdhsa_next_free_vgpr 20
		.amdhsa_next_free_sgpr 22
		.amdhsa_accum_offset 20
		.amdhsa_reserve_vcc 1
		.amdhsa_reserve_flat_scratch 0
		.amdhsa_float_round_mode_32 0
		.amdhsa_float_round_mode_16_64 0
		.amdhsa_float_denorm_mode_32 3
		.amdhsa_float_denorm_mode_16_64 3
		.amdhsa_dx10_clamp 1
		.amdhsa_ieee_mode 1
		.amdhsa_fp16_overflow 0
		.amdhsa_tg_split 0
		.amdhsa_exception_fp_ieee_invalid_op 0
		.amdhsa_exception_fp_denorm_src 0
		.amdhsa_exception_fp_ieee_div_zero 0
		.amdhsa_exception_fp_ieee_overflow 0
		.amdhsa_exception_fp_ieee_underflow 0
		.amdhsa_exception_fp_ieee_inexact 0
		.amdhsa_exception_int_div_zero 0
	.end_amdhsa_kernel
	.section	.text._ZN9rocsparseL13ellmvn_kernelILj512Ei21rocsparse_complex_numIfES2_S2_S2_EEvT0_S3_S3_NS_24const_host_device_scalarIT4_EEPKS3_PKT1_PKT2_S6_PT3_21rocsparse_index_base_b,"axG",@progbits,_ZN9rocsparseL13ellmvn_kernelILj512Ei21rocsparse_complex_numIfES2_S2_S2_EEvT0_S3_S3_NS_24const_host_device_scalarIT4_EEPKS3_PKT1_PKT2_S6_PT3_21rocsparse_index_base_b,comdat
.Lfunc_end8:
	.size	_ZN9rocsparseL13ellmvn_kernelILj512Ei21rocsparse_complex_numIfES2_S2_S2_EEvT0_S3_S3_NS_24const_host_device_scalarIT4_EEPKS3_PKT1_PKT2_S6_PT3_21rocsparse_index_base_b, .Lfunc_end8-_ZN9rocsparseL13ellmvn_kernelILj512Ei21rocsparse_complex_numIfES2_S2_S2_EEvT0_S3_S3_NS_24const_host_device_scalarIT4_EEPKS3_PKT1_PKT2_S6_PT3_21rocsparse_index_base_b
                                        ; -- End function
	.section	.AMDGPU.csdata,"",@progbits
; Kernel info:
; codeLenInByte = 812
; NumSgprs: 26
; NumVgprs: 20
; NumAgprs: 0
; TotalNumVgprs: 20
; ScratchSize: 0
; MemoryBound: 0
; FloatMode: 240
; IeeeMode: 1
; LDSByteSize: 0 bytes/workgroup (compile time only)
; SGPRBlocks: 3
; VGPRBlocks: 2
; NumSGPRsForWavesPerEU: 26
; NumVGPRsForWavesPerEU: 20
; AccumOffset: 20
; Occupancy: 8
; WaveLimiterHint : 1
; COMPUTE_PGM_RSRC2:SCRATCH_EN: 0
; COMPUTE_PGM_RSRC2:USER_SGPR: 6
; COMPUTE_PGM_RSRC2:TRAP_HANDLER: 0
; COMPUTE_PGM_RSRC2:TGID_X_EN: 1
; COMPUTE_PGM_RSRC2:TGID_Y_EN: 0
; COMPUTE_PGM_RSRC2:TGID_Z_EN: 0
; COMPUTE_PGM_RSRC2:TIDIG_COMP_CNT: 0
; COMPUTE_PGM_RSRC3_GFX90A:ACCUM_OFFSET: 4
; COMPUTE_PGM_RSRC3_GFX90A:TG_SPLIT: 0
	.section	.text._ZN9rocsparseL13ellmvt_kernelILj1024Ei21rocsparse_complex_numIfES2_S2_S2_EEv20rocsparse_operation_T0_S4_S4_NS_24const_host_device_scalarIT4_EEPKS4_PKT1_PKT2_PT3_21rocsparse_index_base_b,"axG",@progbits,_ZN9rocsparseL13ellmvt_kernelILj1024Ei21rocsparse_complex_numIfES2_S2_S2_EEv20rocsparse_operation_T0_S4_S4_NS_24const_host_device_scalarIT4_EEPKS4_PKT1_PKT2_PT3_21rocsparse_index_base_b,comdat
	.globl	_ZN9rocsparseL13ellmvt_kernelILj1024Ei21rocsparse_complex_numIfES2_S2_S2_EEv20rocsparse_operation_T0_S4_S4_NS_24const_host_device_scalarIT4_EEPKS4_PKT1_PKT2_PT3_21rocsparse_index_base_b ; -- Begin function _ZN9rocsparseL13ellmvt_kernelILj1024Ei21rocsparse_complex_numIfES2_S2_S2_EEv20rocsparse_operation_T0_S4_S4_NS_24const_host_device_scalarIT4_EEPKS4_PKT1_PKT2_PT3_21rocsparse_index_base_b
	.p2align	8
	.type	_ZN9rocsparseL13ellmvt_kernelILj1024Ei21rocsparse_complex_numIfES2_S2_S2_EEv20rocsparse_operation_T0_S4_S4_NS_24const_host_device_scalarIT4_EEPKS4_PKT1_PKT2_PT3_21rocsparse_index_base_b,@function
_ZN9rocsparseL13ellmvt_kernelILj1024Ei21rocsparse_complex_numIfES2_S2_S2_EEv20rocsparse_operation_T0_S4_S4_NS_24const_host_device_scalarIT4_EEPKS4_PKT1_PKT2_PT3_21rocsparse_index_base_b: ; @_ZN9rocsparseL13ellmvt_kernelILj1024Ei21rocsparse_complex_numIfES2_S2_S2_EEv20rocsparse_operation_T0_S4_S4_NS_24const_host_device_scalarIT4_EEPKS4_PKT1_PKT2_PT3_21rocsparse_index_base_b
; %bb.0:
	s_load_dwordx2 s[2:3], s[4:5], 0x38
	s_load_dwordx4 s[12:15], s[4:5], 0x0
	s_load_dwordx2 s[0:1], s[4:5], 0x10
	s_waitcnt lgkmcnt(0)
	s_bitcmp1_b32 s3, 0
	s_cselect_b64 s[10:11], -1, 0
	s_xor_b64 s[8:9], s[10:11], -1
	s_and_b64 vcc, exec, s[10:11]
	v_mov_b32_e32 v2, s0
	s_cbranch_vccnz .LBB9_2
; %bb.1:
	v_pk_mov_b32 v[2:3], s[0:1], s[0:1] op_sel:[0,1]
	flat_load_dword v2, v[2:3]
.LBB9_2:
	s_andn2_b64 vcc, exec, s[8:9]
	v_mov_b32_e32 v3, s1
	s_cbranch_vccnz .LBB9_4
; %bb.3:
	v_pk_mov_b32 v[4:5], s[0:1], s[0:1] op_sel:[0,1]
	flat_load_dword v3, v[4:5] offset:4
.LBB9_4:
	s_waitcnt vmcnt(0) lgkmcnt(0)
	v_cmp_neq_f32_e32 vcc, 0, v2
	v_cmp_neq_f32_e64 s[0:1], 0, v3
	s_or_b64 s[0:1], vcc, s[0:1]
	s_and_saveexec_b64 s[8:9], s[0:1]
	s_cbranch_execz .LBB9_15
; %bb.5:
	v_lshl_or_b32 v0, s6, 10, v0
	v_cmp_gt_i32_e32 vcc, s13, v0
	s_and_b64 exec, exec, vcc
	s_cbranch_execz .LBB9_15
; %bb.6:
	s_cmp_lt_i32 s15, 1
	s_cbranch_scc1 .LBB9_15
; %bb.7:
	s_load_dwordx8 s[4:11], s[4:5], 0x18
	v_ashrrev_i32_e32 v1, 31, v0
	v_lshlrev_b64 v[4:5], 3, v[0:1]
	s_ashr_i32 s3, s13, 31
	s_cmpk_eq_i32 s12, 0x71
	s_waitcnt lgkmcnt(0)
	v_mov_b32_e32 v6, s9
	v_add_co_u32_e32 v4, vcc, s8, v4
	v_addc_co_u32_e32 v5, vcc, v6, v5, vcc
	global_load_dwordx2 v[4:5], v[4:5], off
	s_mov_b32 s20, 0
	s_mov_b64 s[8:9], 0
	v_mov_b32_e32 v10, s13
	s_cselect_b64 s[12:13], -1, 0
	v_mov_b32_e32 v11, s5
                                        ; implicit-def: $sgpr16_sgpr17
	s_waitcnt vmcnt(0)
	v_mul_f32_e64 v12, v5, -v3
	v_mul_f32_e32 v13, v2, v5
	v_fmac_f32_e32 v12, v2, v4
	v_fmac_f32_e32 v13, v3, v4
	v_mov_b32_e32 v3, 0
	s_branch .LBB9_9
.LBB9_8:                                ;   in Loop: Header=BB9_9 Depth=1
	s_or_b64 exec, exec, s[0:1]
	s_and_b64 s[0:1], exec, s[16:17]
	s_or_b64 s[8:9], s[0:1], s[8:9]
	s_andn2_b64 exec, exec, s[8:9]
	s_cbranch_execz .LBB9_15
.LBB9_9:                                ; =>This Loop Header: Depth=1
                                        ;     Child Loop BB9_11 Depth 2
                                        ;     Child Loop BB9_13 Depth 2
	v_mad_u64_u32 v[4:5], s[0:1], s20, v10, v[0:1]
	s_mul_i32 s0, s20, s3
	v_add_u32_e32 v5, s0, v5
	v_lshlrev_b64 v[6:7], 2, v[4:5]
	v_add_co_u32_e32 v6, vcc, s4, v6
	v_addc_co_u32_e32 v7, vcc, v11, v7, vcc
	global_load_dword v2, v[6:7], off glc slc
	s_or_b64 s[16:17], s[16:17], exec
	s_waitcnt vmcnt(0)
	v_subrev_u32_e32 v2, s2, v2
	v_cmp_lt_i32_e32 vcc, -1, v2
	v_cmp_gt_i32_e64 s[0:1], s14, v2
	s_and_b64 s[18:19], vcc, s[0:1]
	s_and_saveexec_b64 s[0:1], s[18:19]
	s_cbranch_execz .LBB9_8
; %bb.10:                               ;   in Loop: Header=BB9_9 Depth=1
	v_lshlrev_b64 v[4:5], 3, v[4:5]
	v_mov_b32_e32 v6, s7
	v_add_co_u32_e32 v4, vcc, s6, v4
	v_addc_co_u32_e32 v5, vcc, v6, v5, vcc
	global_load_dwordx2 v[6:7], v[4:5], off glc slc
	v_lshlrev_b64 v[4:5], 3, v[2:3]
	v_mov_b32_e32 v2, s11
	v_add_co_u32_e32 v4, vcc, s10, v4
	v_addc_co_u32_e32 v5, vcc, v2, v5, vcc
	global_load_dword v9, v[4:5], off
	s_mov_b64 s[18:19], 0
	s_waitcnt vmcnt(1)
	v_cndmask_b32_e64 v2, v7, -v7, s[12:13]
	v_mul_f32_e64 v7, v2, -v13
	v_fmac_f32_e32 v7, v12, v6
.LBB9_11:                               ;   Parent Loop BB9_9 Depth=1
                                        ; =>  This Inner Loop Header: Depth=2
	s_waitcnt vmcnt(0)
	v_add_f32_e32 v8, v9, v7
	global_atomic_cmpswap v8, v[4:5], v[8:9], off glc
	s_waitcnt vmcnt(0)
	v_cmp_eq_u32_e32 vcc, v8, v9
	s_or_b64 s[18:19], vcc, s[18:19]
	v_mov_b32_e32 v9, v8
	s_andn2_b64 exec, exec, s[18:19]
	s_cbranch_execnz .LBB9_11
; %bb.12:                               ;   in Loop: Header=BB9_9 Depth=1
	s_or_b64 exec, exec, s[18:19]
	global_load_dword v7, v[4:5], off offset:4
	v_mul_f32_e32 v2, v12, v2
	v_fmac_f32_e32 v2, v13, v6
	s_mov_b64 s[18:19], 0
.LBB9_13:                               ;   Parent Loop BB9_9 Depth=1
                                        ; =>  This Inner Loop Header: Depth=2
	s_waitcnt vmcnt(0)
	v_add_f32_e32 v6, v7, v2
	global_atomic_cmpswap v6, v[4:5], v[6:7], off offset:4 glc
	s_waitcnt vmcnt(0)
	v_cmp_eq_u32_e32 vcc, v6, v7
	s_or_b64 s[18:19], vcc, s[18:19]
	v_mov_b32_e32 v7, v6
	s_andn2_b64 exec, exec, s[18:19]
	s_cbranch_execnz .LBB9_13
; %bb.14:                               ;   in Loop: Header=BB9_9 Depth=1
	s_or_b64 exec, exec, s[18:19]
	s_add_i32 s20, s20, 1
	s_cmp_eq_u32 s20, s15
	s_cselect_b64 s[18:19], -1, 0
	s_andn2_b64 s[16:17], s[16:17], exec
	s_and_b64 s[18:19], s[18:19], exec
	s_or_b64 s[16:17], s[16:17], s[18:19]
	s_branch .LBB9_8
.LBB9_15:
	s_endpgm
	.section	.rodata,"a",@progbits
	.p2align	6, 0x0
	.amdhsa_kernel _ZN9rocsparseL13ellmvt_kernelILj1024Ei21rocsparse_complex_numIfES2_S2_S2_EEv20rocsparse_operation_T0_S4_S4_NS_24const_host_device_scalarIT4_EEPKS4_PKT1_PKT2_PT3_21rocsparse_index_base_b
		.amdhsa_group_segment_fixed_size 0
		.amdhsa_private_segment_fixed_size 0
		.amdhsa_kernarg_size 64
		.amdhsa_user_sgpr_count 6
		.amdhsa_user_sgpr_private_segment_buffer 1
		.amdhsa_user_sgpr_dispatch_ptr 0
		.amdhsa_user_sgpr_queue_ptr 0
		.amdhsa_user_sgpr_kernarg_segment_ptr 1
		.amdhsa_user_sgpr_dispatch_id 0
		.amdhsa_user_sgpr_flat_scratch_init 0
		.amdhsa_user_sgpr_kernarg_preload_length 0
		.amdhsa_user_sgpr_kernarg_preload_offset 0
		.amdhsa_user_sgpr_private_segment_size 0
		.amdhsa_uses_dynamic_stack 0
		.amdhsa_system_sgpr_private_segment_wavefront_offset 0
		.amdhsa_system_sgpr_workgroup_id_x 1
		.amdhsa_system_sgpr_workgroup_id_y 0
		.amdhsa_system_sgpr_workgroup_id_z 0
		.amdhsa_system_sgpr_workgroup_info 0
		.amdhsa_system_vgpr_workitem_id 0
		.amdhsa_next_free_vgpr 14
		.amdhsa_next_free_sgpr 21
		.amdhsa_accum_offset 16
		.amdhsa_reserve_vcc 1
		.amdhsa_reserve_flat_scratch 0
		.amdhsa_float_round_mode_32 0
		.amdhsa_float_round_mode_16_64 0
		.amdhsa_float_denorm_mode_32 3
		.amdhsa_float_denorm_mode_16_64 3
		.amdhsa_dx10_clamp 1
		.amdhsa_ieee_mode 1
		.amdhsa_fp16_overflow 0
		.amdhsa_tg_split 0
		.amdhsa_exception_fp_ieee_invalid_op 0
		.amdhsa_exception_fp_denorm_src 0
		.amdhsa_exception_fp_ieee_div_zero 0
		.amdhsa_exception_fp_ieee_overflow 0
		.amdhsa_exception_fp_ieee_underflow 0
		.amdhsa_exception_fp_ieee_inexact 0
		.amdhsa_exception_int_div_zero 0
	.end_amdhsa_kernel
	.section	.text._ZN9rocsparseL13ellmvt_kernelILj1024Ei21rocsparse_complex_numIfES2_S2_S2_EEv20rocsparse_operation_T0_S4_S4_NS_24const_host_device_scalarIT4_EEPKS4_PKT1_PKT2_PT3_21rocsparse_index_base_b,"axG",@progbits,_ZN9rocsparseL13ellmvt_kernelILj1024Ei21rocsparse_complex_numIfES2_S2_S2_EEv20rocsparse_operation_T0_S4_S4_NS_24const_host_device_scalarIT4_EEPKS4_PKT1_PKT2_PT3_21rocsparse_index_base_b,comdat
.Lfunc_end9:
	.size	_ZN9rocsparseL13ellmvt_kernelILj1024Ei21rocsparse_complex_numIfES2_S2_S2_EEv20rocsparse_operation_T0_S4_S4_NS_24const_host_device_scalarIT4_EEPKS4_PKT1_PKT2_PT3_21rocsparse_index_base_b, .Lfunc_end9-_ZN9rocsparseL13ellmvt_kernelILj1024Ei21rocsparse_complex_numIfES2_S2_S2_EEv20rocsparse_operation_T0_S4_S4_NS_24const_host_device_scalarIT4_EEPKS4_PKT1_PKT2_PT3_21rocsparse_index_base_b
                                        ; -- End function
	.section	.AMDGPU.csdata,"",@progbits
; Kernel info:
; codeLenInByte = 576
; NumSgprs: 25
; NumVgprs: 14
; NumAgprs: 0
; TotalNumVgprs: 14
; ScratchSize: 0
; MemoryBound: 0
; FloatMode: 240
; IeeeMode: 1
; LDSByteSize: 0 bytes/workgroup (compile time only)
; SGPRBlocks: 3
; VGPRBlocks: 1
; NumSGPRsForWavesPerEU: 25
; NumVGPRsForWavesPerEU: 14
; AccumOffset: 16
; Occupancy: 8
; WaveLimiterHint : 1
; COMPUTE_PGM_RSRC2:SCRATCH_EN: 0
; COMPUTE_PGM_RSRC2:USER_SGPR: 6
; COMPUTE_PGM_RSRC2:TRAP_HANDLER: 0
; COMPUTE_PGM_RSRC2:TGID_X_EN: 1
; COMPUTE_PGM_RSRC2:TGID_Y_EN: 0
; COMPUTE_PGM_RSRC2:TGID_Z_EN: 0
; COMPUTE_PGM_RSRC2:TIDIG_COMP_CNT: 0
; COMPUTE_PGM_RSRC3_GFX90A:ACCUM_OFFSET: 3
; COMPUTE_PGM_RSRC3_GFX90A:TG_SPLIT: 0
	.section	.text._ZN9rocsparseL13ellmvn_kernelILj512El21rocsparse_complex_numIfES2_S2_S2_EEvT0_S3_S3_NS_24const_host_device_scalarIT4_EEPKS3_PKT1_PKT2_S6_PT3_21rocsparse_index_base_b,"axG",@progbits,_ZN9rocsparseL13ellmvn_kernelILj512El21rocsparse_complex_numIfES2_S2_S2_EEvT0_S3_S3_NS_24const_host_device_scalarIT4_EEPKS3_PKT1_PKT2_S6_PT3_21rocsparse_index_base_b,comdat
	.globl	_ZN9rocsparseL13ellmvn_kernelILj512El21rocsparse_complex_numIfES2_S2_S2_EEvT0_S3_S3_NS_24const_host_device_scalarIT4_EEPKS3_PKT1_PKT2_S6_PT3_21rocsparse_index_base_b ; -- Begin function _ZN9rocsparseL13ellmvn_kernelILj512El21rocsparse_complex_numIfES2_S2_S2_EEvT0_S3_S3_NS_24const_host_device_scalarIT4_EEPKS3_PKT1_PKT2_S6_PT3_21rocsparse_index_base_b
	.p2align	8
	.type	_ZN9rocsparseL13ellmvn_kernelILj512El21rocsparse_complex_numIfES2_S2_S2_EEvT0_S3_S3_NS_24const_host_device_scalarIT4_EEPKS3_PKT1_PKT2_S6_PT3_21rocsparse_index_base_b,@function
_ZN9rocsparseL13ellmvn_kernelILj512El21rocsparse_complex_numIfES2_S2_S2_EEvT0_S3_S3_NS_24const_host_device_scalarIT4_EEPKS3_PKT1_PKT2_S6_PT3_21rocsparse_index_base_b: ; @_ZN9rocsparseL13ellmvn_kernelILj512El21rocsparse_complex_numIfES2_S2_S2_EEvT0_S3_S3_NS_24const_host_device_scalarIT4_EEPKS3_PKT1_PKT2_S6_PT3_21rocsparse_index_base_b
; %bb.0:
	s_load_dwordx2 s[2:3], s[4:5], 0x48
	s_load_dwordx2 s[16:17], s[4:5], 0x38
	s_load_dwordx8 s[8:15], s[4:5], 0x0
	s_waitcnt lgkmcnt(0)
	s_bitcmp1_b32 s3, 0
	s_cselect_b64 s[0:1], -1, 0
	s_xor_b64 s[18:19], s[0:1], -1
	s_and_b64 vcc, exec, s[0:1]
	v_mov_b32_e32 v2, s14
	s_cbranch_vccnz .LBB10_2
; %bb.1:
	v_pk_mov_b32 v[2:3], s[14:15], s[14:15] op_sel:[0,1]
	flat_load_dword v2, v[2:3]
.LBB10_2:
	v_cndmask_b32_e64 v1, 0, 1, s[18:19]
	v_cmp_ne_u32_e64 s[0:1], 1, v1
	s_andn2_b64 vcc, exec, s[18:19]
	v_mov_b32_e32 v3, s15
	s_cbranch_vccz .LBB10_15
; %bb.3:
	s_and_b64 vcc, exec, s[0:1]
	v_mov_b32_e32 v4, s16
	s_cbranch_vccz .LBB10_16
.LBB10_4:
	s_and_b64 vcc, exec, s[0:1]
	v_mov_b32_e32 v5, s17
	s_cbranch_vccnz .LBB10_6
.LBB10_5:
	v_pk_mov_b32 v[6:7], s[16:17], s[16:17] op_sel:[0,1]
	flat_load_dword v5, v[6:7] offset:4
.LBB10_6:
	s_waitcnt vmcnt(0) lgkmcnt(0)
	v_and_b32_e32 v1, 0x7fffffff, v2
	v_cmp_eq_u32_e32 vcc, 0, v1
	v_cmp_eq_f32_e64 s[0:1], 0, v3
	s_and_b64 s[16:17], vcc, s[0:1]
	s_mov_b64 s[0:1], -1
	s_and_saveexec_b64 s[14:15], s[16:17]
; %bb.7:
	v_and_b32_e32 v1, 0x7fffffff, v5
	v_cmp_neq_f32_e32 vcc, 1.0, v4
	v_cmp_ne_u32_e64 s[0:1], 0, v1
	s_or_b64 s[0:1], vcc, s[0:1]
	s_orn2_b64 s[0:1], s[0:1], exec
; %bb.8:
	s_or_b64 exec, exec, s[14:15]
	s_and_saveexec_b64 s[14:15], s[0:1]
	s_cbranch_execz .LBB10_22
; %bb.9:
	v_lshl_or_b32 v0, s6, 9, v0
	v_mov_b32_e32 v1, 0
	v_cmp_gt_i64_e32 vcc, s[8:9], v[0:1]
	s_and_b64 exec, exec, vcc
	s_cbranch_execz .LBB10_22
; %bb.10:
	s_load_dwordx2 s[6:7], s[4:5], 0x40
	v_cmp_lt_i64_e64 s[14:15], s[12:13], 1
	s_mov_b32 s0, 0
	s_and_b64 vcc, exec, s[14:15]
	v_lshlrev_b64 v[6:7], 3, v[0:1]
	v_mov_b32_e32 v0, v1
	s_cbranch_vccnz .LBB10_18
; %bb.11:
	s_load_dwordx4 s[16:19], s[4:5], 0x20
	s_load_dwordx2 s[14:15], s[4:5], 0x30
	v_mov_b32_e32 v0, 0
	s_lshl_b64 s[8:9], s[8:9], 3
	s_mov_b64 s[4:5], 0
	s_waitcnt lgkmcnt(0)
	v_mov_b32_e32 v12, s17
	v_mov_b32_e32 v13, s0
	v_pk_mov_b32 v[8:9], v[6:7], v[6:7] op_sel:[0,1]
	v_mov_b32_e32 v1, v0
                                        ; implicit-def: $sgpr20_sgpr21
	s_branch .LBB10_13
.LBB10_12:                              ;   in Loop: Header=BB10_13 Depth=1
	s_or_b64 exec, exec, s[0:1]
	s_and_b64 s[0:1], exec, s[20:21]
	s_or_b64 s[4:5], s[0:1], s[4:5]
	s_andn2_b64 exec, exec, s[4:5]
	s_cbranch_execz .LBB10_17
.LBB10_13:                              ; =>This Inner Loop Header: Depth=1
	v_add_co_u32_e32 v10, vcc, s16, v8
	v_addc_co_u32_e32 v11, vcc, v12, v9, vcc
	global_load_dwordx2 v[10:11], v[10:11], off glc slc
	s_or_b64 s[20:21], s[20:21], exec
	s_waitcnt vmcnt(0)
	v_subrev_co_u32_e32 v10, vcc, s2, v10
	v_subb_co_u32_e32 v11, vcc, v11, v13, vcc
	v_cmp_lt_i64_e32 vcc, -1, v[10:11]
	v_cmp_gt_i64_e64 s[0:1], s[10:11], v[10:11]
	s_and_b64 s[22:23], vcc, s[0:1]
	s_and_saveexec_b64 s[0:1], s[22:23]
	s_cbranch_execz .LBB10_12
; %bb.14:                               ;   in Loop: Header=BB10_13 Depth=1
	v_mov_b32_e32 v15, s19
	v_add_co_u32_e32 v14, vcc, s18, v8
	v_addc_co_u32_e32 v15, vcc, v15, v9, vcc
	v_lshlrev_b64 v[10:11], 3, v[10:11]
	v_mov_b32_e32 v16, s15
	v_add_co_u32_e32 v10, vcc, s14, v10
	v_addc_co_u32_e32 v11, vcc, v16, v11, vcc
	global_load_dwordx2 v[16:17], v[10:11], off
	global_load_dwordx2 v[18:19], v[14:15], off glc slc
	s_add_u32 s12, s12, -1
	s_addc_u32 s13, s13, -1
	s_cmp_eq_u64 s[12:13], 0
	s_cselect_b64 s[22:23], -1, 0
	v_mov_b32_e32 v10, s9
	v_add_co_u32_e32 v8, vcc, s8, v8
	s_andn2_b64 s[20:21], s[20:21], exec
	s_and_b64 s[22:23], s[22:23], exec
	v_addc_co_u32_e32 v9, vcc, v9, v10, vcc
	s_or_b64 s[20:21], s[20:21], s[22:23]
	s_waitcnt vmcnt(0)
	v_pk_fma_f32 v[0:1], v[18:19], v[16:17], v[0:1] op_sel_hi:[1,0,1]
	v_pk_fma_f32 v[0:1], v[18:19], v[16:17], v[0:1] op_sel:[1,1,0] op_sel_hi:[0,1,1] neg_lo:[1,0,0]
	s_branch .LBB10_12
.LBB10_15:
	v_pk_mov_b32 v[4:5], s[14:15], s[14:15] op_sel:[0,1]
	flat_load_dword v3, v[4:5] offset:4
	s_and_b64 vcc, exec, s[0:1]
	v_mov_b32_e32 v4, s16
	s_cbranch_vccnz .LBB10_4
.LBB10_16:
	v_pk_mov_b32 v[4:5], s[16:17], s[16:17] op_sel:[0,1]
	flat_load_dword v4, v[4:5]
	s_and_b64 vcc, exec, s[0:1]
	v_mov_b32_e32 v5, s17
	s_cbranch_vccz .LBB10_5
	s_branch .LBB10_6
.LBB10_17:
	s_or_b64 exec, exec, s[4:5]
.LBB10_18:
	v_and_b32_e32 v8, 0x7fffffff, v4
	v_cmp_eq_u32_e32 vcc, 0, v8
	v_cmp_eq_f32_e64 s[0:1], 0, v5
	s_and_b64 s[0:1], vcc, s[0:1]
	s_and_saveexec_b64 s[2:3], s[0:1]
	s_xor_b64 s[0:1], exec, s[2:3]
	s_cbranch_execz .LBB10_20
; %bb.19:
	s_waitcnt lgkmcnt(0)
	v_mov_b32_e32 v5, s7
	v_add_co_u32_e32 v6, vcc, s6, v6
	v_xor_b32_e32 v4, 0x80000000, v3
	v_addc_co_u32_e32 v7, vcc, v5, v7, vcc
	v_mov_b32_e32 v5, v2
	v_pk_mul_f32 v[4:5], v[0:1], v[4:5] op_sel:[1,0]
	v_pk_fma_f32 v[0:1], v[2:3], v[0:1], v[4:5] op_sel_hi:[1,0,1]
	global_store_dwordx2 v[6:7], v[0:1], off glc slc
                                        ; implicit-def: $vgpr4
                                        ; implicit-def: $vgpr6_vgpr7
                                        ; implicit-def: $vgpr3
                                        ; implicit-def: $vgpr0_vgpr1
.LBB10_20:
	s_andn2_saveexec_b64 s[0:1], s[0:1]
	s_cbranch_execz .LBB10_22
; %bb.21:
	s_waitcnt lgkmcnt(0)
	v_mov_b32_e32 v8, s7
	v_add_co_u32_e32 v6, vcc, s6, v6
	v_addc_co_u32_e32 v7, vcc, v8, v7, vcc
	global_load_dwordx2 v[8:9], v[6:7], off glc slc
	v_xor_b32_e32 v10, 0x80000000, v3
	v_mov_b32_e32 v11, v2
	v_pk_mul_f32 v[10:11], v[0:1], v[10:11] op_sel:[1,0]
	v_pk_fma_f32 v[0:1], v[2:3], v[0:1], v[10:11] op_sel_hi:[1,0,1]
	v_xor_b32_e32 v12, 0x80000000, v5
	v_mov_b32_e32 v13, v4
	s_waitcnt vmcnt(0)
	v_pk_fma_f32 v[0:1], v[4:5], v[8:9], v[0:1] op_sel_hi:[1,0,1]
	v_pk_fma_f32 v[0:1], v[12:13], v[8:9], v[0:1] op_sel:[0,1,0]
	global_store_dwordx2 v[6:7], v[0:1], off glc slc
.LBB10_22:
	s_endpgm
	.section	.rodata,"a",@progbits
	.p2align	6, 0x0
	.amdhsa_kernel _ZN9rocsparseL13ellmvn_kernelILj512El21rocsparse_complex_numIfES2_S2_S2_EEvT0_S3_S3_NS_24const_host_device_scalarIT4_EEPKS3_PKT1_PKT2_S6_PT3_21rocsparse_index_base_b
		.amdhsa_group_segment_fixed_size 0
		.amdhsa_private_segment_fixed_size 0
		.amdhsa_kernarg_size 80
		.amdhsa_user_sgpr_count 6
		.amdhsa_user_sgpr_private_segment_buffer 1
		.amdhsa_user_sgpr_dispatch_ptr 0
		.amdhsa_user_sgpr_queue_ptr 0
		.amdhsa_user_sgpr_kernarg_segment_ptr 1
		.amdhsa_user_sgpr_dispatch_id 0
		.amdhsa_user_sgpr_flat_scratch_init 0
		.amdhsa_user_sgpr_kernarg_preload_length 0
		.amdhsa_user_sgpr_kernarg_preload_offset 0
		.amdhsa_user_sgpr_private_segment_size 0
		.amdhsa_uses_dynamic_stack 0
		.amdhsa_system_sgpr_private_segment_wavefront_offset 0
		.amdhsa_system_sgpr_workgroup_id_x 1
		.amdhsa_system_sgpr_workgroup_id_y 0
		.amdhsa_system_sgpr_workgroup_id_z 0
		.amdhsa_system_sgpr_workgroup_info 0
		.amdhsa_system_vgpr_workitem_id 0
		.amdhsa_next_free_vgpr 20
		.amdhsa_next_free_sgpr 24
		.amdhsa_accum_offset 20
		.amdhsa_reserve_vcc 1
		.amdhsa_reserve_flat_scratch 0
		.amdhsa_float_round_mode_32 0
		.amdhsa_float_round_mode_16_64 0
		.amdhsa_float_denorm_mode_32 3
		.amdhsa_float_denorm_mode_16_64 3
		.amdhsa_dx10_clamp 1
		.amdhsa_ieee_mode 1
		.amdhsa_fp16_overflow 0
		.amdhsa_tg_split 0
		.amdhsa_exception_fp_ieee_invalid_op 0
		.amdhsa_exception_fp_denorm_src 0
		.amdhsa_exception_fp_ieee_div_zero 0
		.amdhsa_exception_fp_ieee_overflow 0
		.amdhsa_exception_fp_ieee_underflow 0
		.amdhsa_exception_fp_ieee_inexact 0
		.amdhsa_exception_int_div_zero 0
	.end_amdhsa_kernel
	.section	.text._ZN9rocsparseL13ellmvn_kernelILj512El21rocsparse_complex_numIfES2_S2_S2_EEvT0_S3_S3_NS_24const_host_device_scalarIT4_EEPKS3_PKT1_PKT2_S6_PT3_21rocsparse_index_base_b,"axG",@progbits,_ZN9rocsparseL13ellmvn_kernelILj512El21rocsparse_complex_numIfES2_S2_S2_EEvT0_S3_S3_NS_24const_host_device_scalarIT4_EEPKS3_PKT1_PKT2_S6_PT3_21rocsparse_index_base_b,comdat
.Lfunc_end10:
	.size	_ZN9rocsparseL13ellmvn_kernelILj512El21rocsparse_complex_numIfES2_S2_S2_EEvT0_S3_S3_NS_24const_host_device_scalarIT4_EEPKS3_PKT1_PKT2_S6_PT3_21rocsparse_index_base_b, .Lfunc_end10-_ZN9rocsparseL13ellmvn_kernelILj512El21rocsparse_complex_numIfES2_S2_S2_EEvT0_S3_S3_NS_24const_host_device_scalarIT4_EEPKS3_PKT1_PKT2_S6_PT3_21rocsparse_index_base_b
                                        ; -- End function
	.section	.AMDGPU.csdata,"",@progbits
; Kernel info:
; codeLenInByte = 776
; NumSgprs: 28
; NumVgprs: 20
; NumAgprs: 0
; TotalNumVgprs: 20
; ScratchSize: 0
; MemoryBound: 0
; FloatMode: 240
; IeeeMode: 1
; LDSByteSize: 0 bytes/workgroup (compile time only)
; SGPRBlocks: 3
; VGPRBlocks: 2
; NumSGPRsForWavesPerEU: 28
; NumVGPRsForWavesPerEU: 20
; AccumOffset: 20
; Occupancy: 8
; WaveLimiterHint : 1
; COMPUTE_PGM_RSRC2:SCRATCH_EN: 0
; COMPUTE_PGM_RSRC2:USER_SGPR: 6
; COMPUTE_PGM_RSRC2:TRAP_HANDLER: 0
; COMPUTE_PGM_RSRC2:TGID_X_EN: 1
; COMPUTE_PGM_RSRC2:TGID_Y_EN: 0
; COMPUTE_PGM_RSRC2:TGID_Z_EN: 0
; COMPUTE_PGM_RSRC2:TIDIG_COMP_CNT: 0
; COMPUTE_PGM_RSRC3_GFX90A:ACCUM_OFFSET: 4
; COMPUTE_PGM_RSRC3_GFX90A:TG_SPLIT: 0
	.section	.text._ZN9rocsparseL13ellmvt_kernelILj1024El21rocsparse_complex_numIfES2_S2_S2_EEv20rocsparse_operation_T0_S4_S4_NS_24const_host_device_scalarIT4_EEPKS4_PKT1_PKT2_PT3_21rocsparse_index_base_b,"axG",@progbits,_ZN9rocsparseL13ellmvt_kernelILj1024El21rocsparse_complex_numIfES2_S2_S2_EEv20rocsparse_operation_T0_S4_S4_NS_24const_host_device_scalarIT4_EEPKS4_PKT1_PKT2_PT3_21rocsparse_index_base_b,comdat
	.globl	_ZN9rocsparseL13ellmvt_kernelILj1024El21rocsparse_complex_numIfES2_S2_S2_EEv20rocsparse_operation_T0_S4_S4_NS_24const_host_device_scalarIT4_EEPKS4_PKT1_PKT2_PT3_21rocsparse_index_base_b ; -- Begin function _ZN9rocsparseL13ellmvt_kernelILj1024El21rocsparse_complex_numIfES2_S2_S2_EEv20rocsparse_operation_T0_S4_S4_NS_24const_host_device_scalarIT4_EEPKS4_PKT1_PKT2_PT3_21rocsparse_index_base_b
	.p2align	8
	.type	_ZN9rocsparseL13ellmvt_kernelILj1024El21rocsparse_complex_numIfES2_S2_S2_EEv20rocsparse_operation_T0_S4_S4_NS_24const_host_device_scalarIT4_EEPKS4_PKT1_PKT2_PT3_21rocsparse_index_base_b,@function
_ZN9rocsparseL13ellmvt_kernelILj1024El21rocsparse_complex_numIfES2_S2_S2_EEv20rocsparse_operation_T0_S4_S4_NS_24const_host_device_scalarIT4_EEPKS4_PKT1_PKT2_PT3_21rocsparse_index_base_b: ; @_ZN9rocsparseL13ellmvt_kernelILj1024El21rocsparse_complex_numIfES2_S2_S2_EEv20rocsparse_operation_T0_S4_S4_NS_24const_host_device_scalarIT4_EEPKS4_PKT1_PKT2_PT3_21rocsparse_index_base_b
; %bb.0:
	s_load_dwordx2 s[2:3], s[4:5], 0x48
	s_load_dwordx2 s[0:1], s[4:5], 0x20
	s_load_dwordx8 s[8:15], s[4:5], 0x8
	s_waitcnt lgkmcnt(0)
	s_bitcmp1_b32 s3, 0
	s_cselect_b64 s[18:19], -1, 0
	s_xor_b64 s[16:17], s[18:19], -1
	s_and_b64 vcc, exec, s[18:19]
	v_mov_b32_e32 v2, s0
	s_cbranch_vccnz .LBB11_2
; %bb.1:
	v_pk_mov_b32 v[2:3], s[14:15], s[14:15] op_sel:[0,1]
	flat_load_dword v2, v[2:3]
.LBB11_2:
	s_andn2_b64 vcc, exec, s[16:17]
	v_mov_b32_e32 v3, s1
	s_cbranch_vccnz .LBB11_4
; %bb.3:
	v_pk_mov_b32 v[4:5], s[14:15], s[14:15] op_sel:[0,1]
	flat_load_dword v3, v[4:5] offset:4
.LBB11_4:
	s_waitcnt vmcnt(0) lgkmcnt(0)
	v_cmp_neq_f32_e32 vcc, 0, v2
	v_cmp_neq_f32_e64 s[0:1], 0, v3
	s_or_b64 s[0:1], vcc, s[0:1]
	s_and_saveexec_b64 s[14:15], s[0:1]
	s_cbranch_execz .LBB11_15
; %bb.5:
	v_lshl_or_b32 v0, s6, 10, v0
	v_mov_b32_e32 v1, 0
	v_cmp_gt_i64_e32 vcc, s[8:9], v[0:1]
	s_and_b64 exec, exec, vcc
	s_cbranch_execz .LBB11_15
; %bb.6:
	v_cmp_lt_i64_e64 s[0:1], s[12:13], 1
	s_and_b64 vcc, exec, s[0:1]
	s_cbranch_vccnz .LBB11_15
; %bb.7:
	s_load_dwordx8 s[16:23], s[4:5], 0x28
	v_lshlrev_b64 v[4:5], 3, v[0:1]
	s_load_dword s0, s[4:5], 0x0
	s_mov_b32 s1, 0
	s_mov_b64 s[4:5], 0
	s_waitcnt lgkmcnt(0)
	v_mov_b32_e32 v6, s21
	v_add_co_u32_e32 v4, vcc, s20, v4
	v_addc_co_u32_e32 v5, vcc, v6, v5, vcc
	global_load_dwordx2 v[4:5], v[4:5], off
	s_cmpk_eq_i32 s0, 0x71
	v_mov_b32_e32 v8, s8
	v_mov_b32_e32 v9, s1
	;; [unrolled: 1-line block ×3, first 2 shown]
	s_cselect_b64 s[14:15], -1, 0
	s_mov_b64 s[20:21], 0
                                        ; implicit-def: $sgpr6_sgpr7
	s_waitcnt vmcnt(0)
	v_mul_f32_e64 v11, v5, -v3
	v_mul_f32_e32 v12, v2, v5
	v_fmac_f32_e32 v11, v2, v4
	v_fmac_f32_e32 v12, v3, v4
	s_branch .LBB11_9
.LBB11_8:                               ;   in Loop: Header=BB11_9 Depth=1
	s_or_b64 exec, exec, s[0:1]
	s_and_b64 s[0:1], exec, s[6:7]
	s_or_b64 s[4:5], s[0:1], s[4:5]
	s_andn2_b64 exec, exec, s[4:5]
	s_cbranch_execz .LBB11_15
.LBB11_9:                               ; =>This Loop Header: Depth=1
                                        ;     Child Loop BB11_11 Depth 2
                                        ;     Child Loop BB11_13 Depth 2
	s_mul_i32 s0, s21, s8
	s_mul_i32 s1, s20, s9
	s_add_i32 s3, s1, s0
	v_mad_u64_u32 v[2:3], s[0:1], s20, v8, v[0:1]
	v_add_u32_e32 v3, s3, v3
	v_lshlrev_b64 v[2:3], 3, v[2:3]
	v_add_co_u32_e32 v4, vcc, s16, v2
	v_addc_co_u32_e32 v5, vcc, v10, v3, vcc
	global_load_dwordx2 v[4:5], v[4:5], off glc slc
	s_or_b64 s[6:7], s[6:7], exec
	s_waitcnt vmcnt(0)
	v_subrev_co_u32_e32 v6, vcc, s2, v4
	v_subb_co_u32_e32 v7, vcc, v5, v9, vcc
	v_cmp_lt_i64_e32 vcc, -1, v[6:7]
	v_cmp_gt_i64_e64 s[0:1], s[10:11], v[6:7]
	s_and_b64 s[24:25], vcc, s[0:1]
	s_and_saveexec_b64 s[0:1], s[24:25]
	s_cbranch_execz .LBB11_8
; %bb.10:                               ;   in Loop: Header=BB11_9 Depth=1
	v_mov_b32_e32 v4, s19
	v_add_co_u32_e32 v2, vcc, s18, v2
	v_addc_co_u32_e32 v3, vcc, v4, v3, vcc
	global_load_dwordx2 v[4:5], v[2:3], off glc slc
	v_lshlrev_b64 v[2:3], 3, v[6:7]
	v_mov_b32_e32 v6, s23
	v_add_co_u32_e32 v2, vcc, s22, v2
	v_addc_co_u32_e32 v3, vcc, v6, v3, vcc
	global_load_dword v7, v[2:3], off
	s_mov_b64 s[24:25], 0
	s_waitcnt vmcnt(1)
	v_cndmask_b32_e64 v13, v5, -v5, s[14:15]
	v_mul_f32_e64 v5, v13, -v12
	v_fmac_f32_e32 v5, v11, v4
.LBB11_11:                              ;   Parent Loop BB11_9 Depth=1
                                        ; =>  This Inner Loop Header: Depth=2
	s_waitcnt vmcnt(0)
	v_add_f32_e32 v6, v7, v5
	global_atomic_cmpswap v6, v[2:3], v[6:7], off glc
	s_waitcnt vmcnt(0)
	v_cmp_eq_u32_e32 vcc, v6, v7
	s_or_b64 s[24:25], vcc, s[24:25]
	v_mov_b32_e32 v7, v6
	s_andn2_b64 exec, exec, s[24:25]
	s_cbranch_execnz .LBB11_11
; %bb.12:                               ;   in Loop: Header=BB11_9 Depth=1
	s_or_b64 exec, exec, s[24:25]
	global_load_dword v5, v[2:3], off offset:4
	v_mul_f32_e32 v6, v11, v13
	v_fmac_f32_e32 v6, v12, v4
	s_mov_b64 s[24:25], 0
.LBB11_13:                              ;   Parent Loop BB11_9 Depth=1
                                        ; =>  This Inner Loop Header: Depth=2
	s_waitcnt vmcnt(0)
	v_add_f32_e32 v4, v5, v6
	global_atomic_cmpswap v4, v[2:3], v[4:5], off offset:4 glc
	s_waitcnt vmcnt(0)
	v_cmp_eq_u32_e32 vcc, v4, v5
	s_or_b64 s[24:25], vcc, s[24:25]
	v_mov_b32_e32 v5, v4
	s_andn2_b64 exec, exec, s[24:25]
	s_cbranch_execnz .LBB11_13
; %bb.14:                               ;   in Loop: Header=BB11_9 Depth=1
	s_or_b64 exec, exec, s[24:25]
	s_add_u32 s20, s20, 1
	s_addc_u32 s21, s21, 0
	s_cmp_eq_u64 s[20:21], s[12:13]
	s_cselect_b64 s[24:25], -1, 0
	s_andn2_b64 s[6:7], s[6:7], exec
	s_and_b64 s[24:25], s[24:25], exec
	s_or_b64 s[6:7], s[6:7], s[24:25]
	s_branch .LBB11_8
.LBB11_15:
	s_endpgm
	.section	.rodata,"a",@progbits
	.p2align	6, 0x0
	.amdhsa_kernel _ZN9rocsparseL13ellmvt_kernelILj1024El21rocsparse_complex_numIfES2_S2_S2_EEv20rocsparse_operation_T0_S4_S4_NS_24const_host_device_scalarIT4_EEPKS4_PKT1_PKT2_PT3_21rocsparse_index_base_b
		.amdhsa_group_segment_fixed_size 0
		.amdhsa_private_segment_fixed_size 0
		.amdhsa_kernarg_size 80
		.amdhsa_user_sgpr_count 6
		.amdhsa_user_sgpr_private_segment_buffer 1
		.amdhsa_user_sgpr_dispatch_ptr 0
		.amdhsa_user_sgpr_queue_ptr 0
		.amdhsa_user_sgpr_kernarg_segment_ptr 1
		.amdhsa_user_sgpr_dispatch_id 0
		.amdhsa_user_sgpr_flat_scratch_init 0
		.amdhsa_user_sgpr_kernarg_preload_length 0
		.amdhsa_user_sgpr_kernarg_preload_offset 0
		.amdhsa_user_sgpr_private_segment_size 0
		.amdhsa_uses_dynamic_stack 0
		.amdhsa_system_sgpr_private_segment_wavefront_offset 0
		.amdhsa_system_sgpr_workgroup_id_x 1
		.amdhsa_system_sgpr_workgroup_id_y 0
		.amdhsa_system_sgpr_workgroup_id_z 0
		.amdhsa_system_sgpr_workgroup_info 0
		.amdhsa_system_vgpr_workitem_id 0
		.amdhsa_next_free_vgpr 14
		.amdhsa_next_free_sgpr 26
		.amdhsa_accum_offset 16
		.amdhsa_reserve_vcc 1
		.amdhsa_reserve_flat_scratch 0
		.amdhsa_float_round_mode_32 0
		.amdhsa_float_round_mode_16_64 0
		.amdhsa_float_denorm_mode_32 3
		.amdhsa_float_denorm_mode_16_64 3
		.amdhsa_dx10_clamp 1
		.amdhsa_ieee_mode 1
		.amdhsa_fp16_overflow 0
		.amdhsa_tg_split 0
		.amdhsa_exception_fp_ieee_invalid_op 0
		.amdhsa_exception_fp_denorm_src 0
		.amdhsa_exception_fp_ieee_div_zero 0
		.amdhsa_exception_fp_ieee_overflow 0
		.amdhsa_exception_fp_ieee_underflow 0
		.amdhsa_exception_fp_ieee_inexact 0
		.amdhsa_exception_int_div_zero 0
	.end_amdhsa_kernel
	.section	.text._ZN9rocsparseL13ellmvt_kernelILj1024El21rocsparse_complex_numIfES2_S2_S2_EEv20rocsparse_operation_T0_S4_S4_NS_24const_host_device_scalarIT4_EEPKS4_PKT1_PKT2_PT3_21rocsparse_index_base_b,"axG",@progbits,_ZN9rocsparseL13ellmvt_kernelILj1024El21rocsparse_complex_numIfES2_S2_S2_EEv20rocsparse_operation_T0_S4_S4_NS_24const_host_device_scalarIT4_EEPKS4_PKT1_PKT2_PT3_21rocsparse_index_base_b,comdat
.Lfunc_end11:
	.size	_ZN9rocsparseL13ellmvt_kernelILj1024El21rocsparse_complex_numIfES2_S2_S2_EEv20rocsparse_operation_T0_S4_S4_NS_24const_host_device_scalarIT4_EEPKS4_PKT1_PKT2_PT3_21rocsparse_index_base_b, .Lfunc_end11-_ZN9rocsparseL13ellmvt_kernelILj1024El21rocsparse_complex_numIfES2_S2_S2_EEv20rocsparse_operation_T0_S4_S4_NS_24const_host_device_scalarIT4_EEPKS4_PKT1_PKT2_PT3_21rocsparse_index_base_b
                                        ; -- End function
	.section	.AMDGPU.csdata,"",@progbits
; Kernel info:
; codeLenInByte = 600
; NumSgprs: 30
; NumVgprs: 14
; NumAgprs: 0
; TotalNumVgprs: 14
; ScratchSize: 0
; MemoryBound: 0
; FloatMode: 240
; IeeeMode: 1
; LDSByteSize: 0 bytes/workgroup (compile time only)
; SGPRBlocks: 3
; VGPRBlocks: 1
; NumSGPRsForWavesPerEU: 30
; NumVGPRsForWavesPerEU: 14
; AccumOffset: 16
; Occupancy: 8
; WaveLimiterHint : 1
; COMPUTE_PGM_RSRC2:SCRATCH_EN: 0
; COMPUTE_PGM_RSRC2:USER_SGPR: 6
; COMPUTE_PGM_RSRC2:TRAP_HANDLER: 0
; COMPUTE_PGM_RSRC2:TGID_X_EN: 1
; COMPUTE_PGM_RSRC2:TGID_Y_EN: 0
; COMPUTE_PGM_RSRC2:TGID_Z_EN: 0
; COMPUTE_PGM_RSRC2:TIDIG_COMP_CNT: 0
; COMPUTE_PGM_RSRC3_GFX90A:ACCUM_OFFSET: 3
; COMPUTE_PGM_RSRC3_GFX90A:TG_SPLIT: 0
	.section	.text._ZN9rocsparseL13ellmvn_kernelILj512Ei21rocsparse_complex_numIdES2_S2_S2_EEvT0_S3_S3_NS_24const_host_device_scalarIT4_EEPKS3_PKT1_PKT2_S6_PT3_21rocsparse_index_base_b,"axG",@progbits,_ZN9rocsparseL13ellmvn_kernelILj512Ei21rocsparse_complex_numIdES2_S2_S2_EEvT0_S3_S3_NS_24const_host_device_scalarIT4_EEPKS3_PKT1_PKT2_S6_PT3_21rocsparse_index_base_b,comdat
	.globl	_ZN9rocsparseL13ellmvn_kernelILj512Ei21rocsparse_complex_numIdES2_S2_S2_EEvT0_S3_S3_NS_24const_host_device_scalarIT4_EEPKS3_PKT1_PKT2_S6_PT3_21rocsparse_index_base_b ; -- Begin function _ZN9rocsparseL13ellmvn_kernelILj512Ei21rocsparse_complex_numIdES2_S2_S2_EEvT0_S3_S3_NS_24const_host_device_scalarIT4_EEPKS3_PKT1_PKT2_S6_PT3_21rocsparse_index_base_b
	.p2align	8
	.type	_ZN9rocsparseL13ellmvn_kernelILj512Ei21rocsparse_complex_numIdES2_S2_S2_EEvT0_S3_S3_NS_24const_host_device_scalarIT4_EEPKS3_PKT1_PKT2_S6_PT3_21rocsparse_index_base_b,@function
_ZN9rocsparseL13ellmvn_kernelILj512Ei21rocsparse_complex_numIdES2_S2_S2_EEvT0_S3_S3_NS_24const_host_device_scalarIT4_EEPKS3_PKT1_PKT2_S6_PT3_21rocsparse_index_base_b: ; @_ZN9rocsparseL13ellmvn_kernelILj512Ei21rocsparse_complex_numIdES2_S2_S2_EEvT0_S3_S3_NS_24const_host_device_scalarIT4_EEPKS3_PKT1_PKT2_S6_PT3_21rocsparse_index_base_b
; %bb.0:
	s_load_dwordx2 s[2:3], s[6:7], 0x50
	s_load_dwordx4 s[16:19], s[6:7], 0x10
	s_load_dwordx4 s[12:15], s[6:7], 0x38
	s_mov_b64 s[10:11], src_shared_base
	s_load_dwordx2 s[4:5], s[4:5], 0x4
	s_waitcnt lgkmcnt(0)
	s_bitcmp1_b32 s3, 0
	s_cselect_b64 s[0:1], -1, 0
	s_and_b64 vcc, s[0:1], exec
	s_cselect_b32 s3, s11, s17
	s_lshr_b32 s4, s4, 16
	v_and_b32_e32 v8, 0x3ff, v0
	s_mul_i32 s4, s4, s5
	v_mul_lo_u32 v1, s4, v8
	v_bfe_u32 v2, v0, 10, 10
	v_mad_u32_u24 v1, v2, s5, v1
	v_bfe_u32 v0, v0, 20, 10
	v_add_lshl_u32 v4, v1, v0, 3
	v_mov_b32_e32 v5, s16
	v_add_u32_e32 v6, 0x1000, v4
	v_pk_mov_b32 v[0:1], s[16:17], s[16:17] op_sel:[0,1]
	v_pk_mov_b32 v[2:3], s[12:13], s[12:13] op_sel:[0,1]
	ds_write2st64_b64 v4, v[2:3], v[0:1] offset1:8
	v_cndmask_b32_e64 v0, v5, v6, s[0:1]
	v_mov_b32_e32 v1, s3
	flat_load_dwordx2 v[0:1], v[0:1]
	s_xor_b64 s[4:5], s[0:1], -1
	v_pk_mov_b32 v[2:3], s[18:19], s[18:19] op_sel:[0,1]
	s_cbranch_vccnz .LBB12_2
; %bb.1:
	v_pk_mov_b32 v[2:3], s[16:17], s[16:17] op_sel:[0,1]
	flat_load_dwordx2 v[2:3], v[2:3] offset:8
.LBB12_2:
	s_and_b64 s[16:17], s[0:1], exec
	s_cselect_b32 s3, s11, s13
	v_mov_b32_e32 v5, s12
	v_cndmask_b32_e64 v4, v5, v4, s[0:1]
	v_mov_b32_e32 v5, s3
	flat_load_dwordx2 v[4:5], v[4:5]
	s_andn2_b64 vcc, exec, s[4:5]
	v_pk_mov_b32 v[6:7], s[14:15], s[14:15] op_sel:[0,1]
	s_cbranch_vccnz .LBB12_4
; %bb.3:
	v_pk_mov_b32 v[6:7], s[12:13], s[12:13] op_sel:[0,1]
	flat_load_dwordx2 v[6:7], v[6:7] offset:8
.LBB12_4:
	s_waitcnt vmcnt(0) lgkmcnt(0)
	v_cmp_eq_f64_e32 vcc, 0, v[0:1]
	v_cmp_eq_f64_e64 s[0:1], 0, v[2:3]
	s_and_b64 s[10:11], vcc, s[0:1]
	s_mov_b64 s[0:1], -1
	s_and_saveexec_b64 s[4:5], s[10:11]
; %bb.5:
	v_cmp_neq_f64_e32 vcc, 1.0, v[4:5]
	v_cmp_neq_f64_e64 s[0:1], 0, v[6:7]
	s_or_b64 s[0:1], vcc, s[0:1]
	s_orn2_b64 s[0:1], s[0:1], exec
; %bb.6:
	s_or_b64 exec, exec, s[4:5]
	s_and_saveexec_b64 s[4:5], s[0:1]
	s_cbranch_execz .LBB12_18
; %bb.7:
	s_load_dwordx4 s[12:15], s[6:7], 0x0
	v_lshl_or_b32 v8, s8, 9, v8
	s_waitcnt lgkmcnt(0)
	v_cmp_gt_i32_e32 vcc, s12, v8
	s_and_b64 exec, exec, vcc
	s_cbranch_execz .LBB12_18
; %bb.8:
	s_load_dwordx2 s[4:5], s[6:7], 0x48
	v_pk_mov_b32 v[10:11], 0, 0
	s_cmp_lt_i32 s14, 1
	v_ashrrev_i32_e32 v9, 31, v8
	v_pk_mov_b32 v[12:13], v[10:11], v[10:11] op_sel:[0,1]
	s_cbranch_scc1 .LBB12_14
; %bb.9:
	s_load_dwordx4 s[16:19], s[6:7], 0x20
	s_load_dwordx2 s[8:9], s[6:7], 0x30
	v_lshlrev_b64 v[10:11], 2, v[8:9]
	s_ashr_i32 s1, s12, 31
	s_mov_b32 s0, s12
	s_waitcnt lgkmcnt(0)
	v_mov_b32_e32 v12, s17
	v_add_co_u32_e32 v14, vcc, s16, v10
	v_addc_co_u32_e32 v15, vcc, v12, v11, vcc
	v_lshlrev_b64 v[10:11], 4, v[8:9]
	v_mov_b32_e32 v12, s19
	v_add_co_u32_e32 v10, vcc, s18, v10
	v_addc_co_u32_e32 v11, vcc, v11, v12, vcc
	v_add_co_u32_e32 v16, vcc, 8, v10
	v_addc_co_u32_e32 v17, vcc, 0, v11, vcc
	v_pk_mov_b32 v[10:11], 0, 0
	s_lshl_b64 s[6:7], s[0:1], 2
	s_lshl_b64 s[16:17], s[0:1], 4
	s_mov_b64 s[10:11], 0
	v_mov_b32_e32 v19, 0
	v_pk_mov_b32 v[12:13], v[10:11], v[10:11] op_sel:[0,1]
                                        ; implicit-def: $sgpr18_sgpr19
	s_branch .LBB12_11
.LBB12_10:                              ;   in Loop: Header=BB12_11 Depth=1
	s_or_b64 exec, exec, s[0:1]
	s_and_b64 s[0:1], exec, s[18:19]
	s_or_b64 s[10:11], s[0:1], s[10:11]
	s_andn2_b64 exec, exec, s[10:11]
	s_cbranch_execz .LBB12_13
.LBB12_11:                              ; =>This Inner Loop Header: Depth=1
	global_load_dword v18, v[14:15], off glc slc
	s_or_b64 s[18:19], s[18:19], exec
	s_waitcnt vmcnt(0)
	v_subrev_u32_e32 v18, s2, v18
	v_cmp_lt_i32_e32 vcc, -1, v18
	v_cmp_gt_i32_e64 s[0:1], s13, v18
	s_and_b64 s[20:21], vcc, s[0:1]
	s_and_saveexec_b64 s[0:1], s[20:21]
	s_cbranch_execz .LBB12_10
; %bb.12:                               ;   in Loop: Header=BB12_11 Depth=1
	v_lshlrev_b64 v[24:25], 4, v[18:19]
	v_mov_b32_e32 v18, s9
	v_add_co_u32_e32 v24, vcc, s8, v24
	v_addc_co_u32_e32 v25, vcc, v18, v25, vcc
	global_load_dwordx4 v[20:23], v[16:17], off offset:-8 glc slc
	s_add_i32 s14, s14, -1
	global_load_dwordx4 v[24:27], v[24:25], off
	v_mov_b32_e32 v18, s7
	v_add_co_u32_e32 v14, vcc, s6, v14
	s_cmp_eq_u32 s14, 0
	v_addc_co_u32_e32 v15, vcc, v15, v18, vcc
	s_cselect_b64 s[20:21], -1, 0
	v_mov_b32_e32 v28, s17
	v_add_co_u32_e32 v16, vcc, s16, v16
	s_andn2_b64 s[18:19], s[18:19], exec
	s_and_b64 s[20:21], s[20:21], exec
	v_addc_co_u32_e32 v17, vcc, v17, v28, vcc
	s_or_b64 s[18:19], s[18:19], s[20:21]
	s_waitcnt vmcnt(0)
	v_fmac_f64_e32 v[12:13], v[20:21], v[24:25]
	v_fmac_f64_e32 v[10:11], v[22:23], v[24:25]
	v_fma_f64 v[12:13], -v[22:23], v[26:27], v[12:13]
	v_fmac_f64_e32 v[10:11], v[20:21], v[26:27]
	s_branch .LBB12_10
.LBB12_13:
	s_or_b64 exec, exec, s[10:11]
.LBB12_14:
	v_cmp_eq_f64_e32 vcc, 0, v[4:5]
	v_cmp_eq_f64_e64 s[0:1], 0, v[6:7]
	s_and_b64 s[0:1], vcc, s[0:1]
	s_and_saveexec_b64 s[2:3], s[0:1]
	s_xor_b64 s[0:1], exec, s[2:3]
	s_cbranch_execz .LBB12_16
; %bb.15:
	v_mul_f64 v[4:5], v[10:11], -v[2:3]
	v_fmac_f64_e32 v[4:5], v[0:1], v[12:13]
	v_mul_f64 v[6:7], v[0:1], v[10:11]
	v_lshlrev_b64 v[0:1], 4, v[8:9]
	v_fmac_f64_e32 v[6:7], v[2:3], v[12:13]
	s_waitcnt lgkmcnt(0)
	v_mov_b32_e32 v2, s5
	v_add_co_u32_e32 v0, vcc, s4, v0
	v_addc_co_u32_e32 v1, vcc, v2, v1, vcc
	global_store_dwordx4 v[0:1], v[4:7], off glc slc
                                        ; implicit-def: $vgpr8
                                        ; implicit-def: $vgpr10_vgpr11
                                        ; implicit-def: $vgpr2_vgpr3
                                        ; implicit-def: $vgpr0_vgpr1
                                        ; implicit-def: $vgpr12_vgpr13
                                        ; implicit-def: $vgpr4_vgpr5
                                        ; implicit-def: $vgpr6_vgpr7
.LBB12_16:
	s_andn2_saveexec_b64 s[0:1], s[0:1]
	s_cbranch_execz .LBB12_18
; %bb.17:
	v_lshlrev_b64 v[8:9], 4, v[8:9]
	s_waitcnt lgkmcnt(0)
	v_mov_b32_e32 v14, s5
	v_add_co_u32_e32 v18, vcc, s4, v8
	v_addc_co_u32_e32 v19, vcc, v14, v9, vcc
	global_load_dwordx4 v[14:17], v[18:19], off glc slc
	v_mul_f64 v[20:21], v[10:11], -v[2:3]
	v_mul_f64 v[8:9], v[0:1], v[10:11]
	v_fmac_f64_e32 v[20:21], v[0:1], v[12:13]
	v_fmac_f64_e32 v[8:9], v[2:3], v[12:13]
	s_waitcnt vmcnt(0)
	v_fmac_f64_e32 v[20:21], v[4:5], v[14:15]
	v_fmac_f64_e32 v[8:9], v[6:7], v[14:15]
	v_fma_f64 v[6:7], -v[6:7], v[16:17], v[20:21]
	v_fmac_f64_e32 v[8:9], v[4:5], v[16:17]
	global_store_dwordx4 v[18:19], v[6:9], off glc slc
.LBB12_18:
	s_endpgm
	.section	.rodata,"a",@progbits
	.p2align	6, 0x0
	.amdhsa_kernel _ZN9rocsparseL13ellmvn_kernelILj512Ei21rocsparse_complex_numIdES2_S2_S2_EEvT0_S3_S3_NS_24const_host_device_scalarIT4_EEPKS3_PKT1_PKT2_S6_PT3_21rocsparse_index_base_b
		.amdhsa_group_segment_fixed_size 8192
		.amdhsa_private_segment_fixed_size 0
		.amdhsa_kernarg_size 88
		.amdhsa_user_sgpr_count 8
		.amdhsa_user_sgpr_private_segment_buffer 1
		.amdhsa_user_sgpr_dispatch_ptr 1
		.amdhsa_user_sgpr_queue_ptr 0
		.amdhsa_user_sgpr_kernarg_segment_ptr 1
		.amdhsa_user_sgpr_dispatch_id 0
		.amdhsa_user_sgpr_flat_scratch_init 0
		.amdhsa_user_sgpr_kernarg_preload_length 0
		.amdhsa_user_sgpr_kernarg_preload_offset 0
		.amdhsa_user_sgpr_private_segment_size 0
		.amdhsa_uses_dynamic_stack 0
		.amdhsa_system_sgpr_private_segment_wavefront_offset 0
		.amdhsa_system_sgpr_workgroup_id_x 1
		.amdhsa_system_sgpr_workgroup_id_y 0
		.amdhsa_system_sgpr_workgroup_id_z 0
		.amdhsa_system_sgpr_workgroup_info 0
		.amdhsa_system_vgpr_workitem_id 2
		.amdhsa_next_free_vgpr 29
		.amdhsa_next_free_sgpr 22
		.amdhsa_accum_offset 32
		.amdhsa_reserve_vcc 1
		.amdhsa_reserve_flat_scratch 0
		.amdhsa_float_round_mode_32 0
		.amdhsa_float_round_mode_16_64 0
		.amdhsa_float_denorm_mode_32 3
		.amdhsa_float_denorm_mode_16_64 3
		.amdhsa_dx10_clamp 1
		.amdhsa_ieee_mode 1
		.amdhsa_fp16_overflow 0
		.amdhsa_tg_split 0
		.amdhsa_exception_fp_ieee_invalid_op 0
		.amdhsa_exception_fp_denorm_src 0
		.amdhsa_exception_fp_ieee_div_zero 0
		.amdhsa_exception_fp_ieee_overflow 0
		.amdhsa_exception_fp_ieee_underflow 0
		.amdhsa_exception_fp_ieee_inexact 0
		.amdhsa_exception_int_div_zero 0
	.end_amdhsa_kernel
	.section	.text._ZN9rocsparseL13ellmvn_kernelILj512Ei21rocsparse_complex_numIdES2_S2_S2_EEvT0_S3_S3_NS_24const_host_device_scalarIT4_EEPKS3_PKT1_PKT2_S6_PT3_21rocsparse_index_base_b,"axG",@progbits,_ZN9rocsparseL13ellmvn_kernelILj512Ei21rocsparse_complex_numIdES2_S2_S2_EEvT0_S3_S3_NS_24const_host_device_scalarIT4_EEPKS3_PKT1_PKT2_S6_PT3_21rocsparse_index_base_b,comdat
.Lfunc_end12:
	.size	_ZN9rocsparseL13ellmvn_kernelILj512Ei21rocsparse_complex_numIdES2_S2_S2_EEvT0_S3_S3_NS_24const_host_device_scalarIT4_EEPKS3_PKT1_PKT2_S6_PT3_21rocsparse_index_base_b, .Lfunc_end12-_ZN9rocsparseL13ellmvn_kernelILj512Ei21rocsparse_complex_numIdES2_S2_S2_EEvT0_S3_S3_NS_24const_host_device_scalarIT4_EEPKS3_PKT1_PKT2_S6_PT3_21rocsparse_index_base_b
                                        ; -- End function
	.section	.AMDGPU.csdata,"",@progbits
; Kernel info:
; codeLenInByte = 868
; NumSgprs: 26
; NumVgprs: 29
; NumAgprs: 0
; TotalNumVgprs: 29
; ScratchSize: 0
; MemoryBound: 0
; FloatMode: 240
; IeeeMode: 1
; LDSByteSize: 8192 bytes/workgroup (compile time only)
; SGPRBlocks: 3
; VGPRBlocks: 3
; NumSGPRsForWavesPerEU: 26
; NumVGPRsForWavesPerEU: 29
; AccumOffset: 32
; Occupancy: 8
; WaveLimiterHint : 1
; COMPUTE_PGM_RSRC2:SCRATCH_EN: 0
; COMPUTE_PGM_RSRC2:USER_SGPR: 8
; COMPUTE_PGM_RSRC2:TRAP_HANDLER: 0
; COMPUTE_PGM_RSRC2:TGID_X_EN: 1
; COMPUTE_PGM_RSRC2:TGID_Y_EN: 0
; COMPUTE_PGM_RSRC2:TGID_Z_EN: 0
; COMPUTE_PGM_RSRC2:TIDIG_COMP_CNT: 2
; COMPUTE_PGM_RSRC3_GFX90A:ACCUM_OFFSET: 7
; COMPUTE_PGM_RSRC3_GFX90A:TG_SPLIT: 0
	.section	.text._ZN9rocsparseL13ellmvt_kernelILj1024Ei21rocsparse_complex_numIdES2_S2_S2_EEv20rocsparse_operation_T0_S4_S4_NS_24const_host_device_scalarIT4_EEPKS4_PKT1_PKT2_PT3_21rocsparse_index_base_b,"axG",@progbits,_ZN9rocsparseL13ellmvt_kernelILj1024Ei21rocsparse_complex_numIdES2_S2_S2_EEv20rocsparse_operation_T0_S4_S4_NS_24const_host_device_scalarIT4_EEPKS4_PKT1_PKT2_PT3_21rocsparse_index_base_b,comdat
	.globl	_ZN9rocsparseL13ellmvt_kernelILj1024Ei21rocsparse_complex_numIdES2_S2_S2_EEv20rocsparse_operation_T0_S4_S4_NS_24const_host_device_scalarIT4_EEPKS4_PKT1_PKT2_PT3_21rocsparse_index_base_b ; -- Begin function _ZN9rocsparseL13ellmvt_kernelILj1024Ei21rocsparse_complex_numIdES2_S2_S2_EEv20rocsparse_operation_T0_S4_S4_NS_24const_host_device_scalarIT4_EEPKS4_PKT1_PKT2_PT3_21rocsparse_index_base_b
	.p2align	8
	.type	_ZN9rocsparseL13ellmvt_kernelILj1024Ei21rocsparse_complex_numIdES2_S2_S2_EEv20rocsparse_operation_T0_S4_S4_NS_24const_host_device_scalarIT4_EEPKS4_PKT1_PKT2_PT3_21rocsparse_index_base_b,@function
_ZN9rocsparseL13ellmvt_kernelILj1024Ei21rocsparse_complex_numIdES2_S2_S2_EEv20rocsparse_operation_T0_S4_S4_NS_24const_host_device_scalarIT4_EEPKS4_PKT1_PKT2_PT3_21rocsparse_index_base_b: ; @_ZN9rocsparseL13ellmvt_kernelILj1024Ei21rocsparse_complex_numIdES2_S2_S2_EEv20rocsparse_operation_T0_S4_S4_NS_24const_host_device_scalarIT4_EEPKS4_PKT1_PKT2_PT3_21rocsparse_index_base_b
; %bb.0:
	s_load_dwordx2 s[16:17], s[6:7], 0x40
	s_load_dwordx2 s[10:11], s[4:5], 0x4
	s_load_dwordx4 s[0:3], s[6:7], 0x10
	v_and_b32_e32 v4, 0x3ff, v0
	v_bfe_u32 v2, v0, 10, 10
	s_waitcnt lgkmcnt(0)
	s_and_b32 s4, 1, s17
	s_lshr_b32 s5, s10, 16
	s_mul_i32 s5, s5, s11
	v_mul_lo_u32 v1, s5, v4
	s_cmp_eq_u32 s4, 1
	v_mad_u32_u24 v1, v2, s11, v1
	v_bfe_u32 v0, v0, 20, 10
	v_add_lshl_u32 v2, v1, v0, 3
	v_pk_mov_b32 v[0:1], s[0:1], s[0:1] op_sel:[0,1]
	s_cselect_b64 vcc, -1, 0
	ds_write_b64 v2, v[0:1]
	s_mov_b64 s[4:5], src_shared_base
	v_cndmask_b32_e32 v0, v0, v2, vcc
	s_and_b64 vcc, vcc, exec
	s_cselect_b32 s4, s5, s1
	v_mov_b32_e32 v1, s4
	flat_load_dwordx2 v[0:1], v[0:1]
	v_pk_mov_b32 v[2:3], s[2:3], s[2:3] op_sel:[0,1]
	s_cbranch_vccnz .LBB13_2
; %bb.1:
	v_pk_mov_b32 v[2:3], s[0:1], s[0:1] op_sel:[0,1]
	flat_load_dwordx2 v[2:3], v[2:3] offset:8
.LBB13_2:
	s_waitcnt vmcnt(0) lgkmcnt(0)
	v_cmp_neq_f64_e32 vcc, 0, v[0:1]
	v_cmp_neq_f64_e64 s[0:1], 0, v[2:3]
	s_or_b64 s[0:1], vcc, s[0:1]
	s_and_saveexec_b64 s[2:3], s[0:1]
	s_cbranch_execz .LBB13_13
; %bb.3:
	s_load_dwordx4 s[12:15], s[6:7], 0x0
	v_lshl_or_b32 v8, s8, 10, v4
	s_waitcnt lgkmcnt(0)
	v_cmp_gt_i32_e32 vcc, s13, v8
	s_and_b64 exec, exec, vcc
	s_cbranch_execz .LBB13_13
; %bb.4:
	s_cmp_lt_i32 s15, 1
	s_cbranch_scc1 .LBB13_13
; %bb.5:
	s_load_dwordx8 s[4:11], s[6:7], 0x20
	v_ashrrev_i32_e32 v9, 31, v8
	v_lshlrev_b64 v[4:5], 4, v[8:9]
	s_ashr_i32 s17, s13, 31
	s_cmpk_eq_i32 s12, 0x71
	s_waitcnt lgkmcnt(0)
	v_mov_b32_e32 v6, s9
	v_add_co_u32_e32 v4, vcc, s8, v4
	v_addc_co_u32_e32 v5, vcc, v6, v5, vcc
	global_load_dwordx4 v[4:7], v[4:5], off
	s_mov_b32 s20, 0
	s_mov_b64 s[8:9], 0
	v_mov_b32_e32 v20, s13
	s_cselect_b64 vcc, -1, 0
	v_mov_b32_e32 v21, s5
	v_mov_b32_e32 v15, 0
                                        ; implicit-def: $sgpr12_sgpr13
	s_waitcnt vmcnt(0)
	v_mul_f64 v[10:11], v[6:7], -v[2:3]
	v_mul_f64 v[12:13], v[0:1], v[6:7]
	v_fmac_f64_e32 v[10:11], v[0:1], v[4:5]
	v_fmac_f64_e32 v[12:13], v[2:3], v[4:5]
	s_branch .LBB13_7
.LBB13_6:                               ;   in Loop: Header=BB13_7 Depth=1
	s_or_b64 exec, exec, s[2:3]
	s_and_b64 s[0:1], exec, s[12:13]
	s_or_b64 s[8:9], s[0:1], s[8:9]
	s_andn2_b64 exec, exec, s[8:9]
	s_cbranch_execz .LBB13_13
.LBB13_7:                               ; =>This Loop Header: Depth=1
                                        ;     Child Loop BB13_9 Depth 2
                                        ;     Child Loop BB13_11 Depth 2
	v_mad_u64_u32 v[0:1], s[0:1], s20, v20, v[8:9]
	s_mul_i32 s0, s20, s17
	v_add_u32_e32 v1, s0, v1
	v_lshlrev_b64 v[2:3], 2, v[0:1]
	v_add_co_u32_e64 v2, s[0:1], s4, v2
	v_addc_co_u32_e64 v3, s[0:1], v21, v3, s[0:1]
	global_load_dword v2, v[2:3], off glc slc
	s_or_b64 s[12:13], s[12:13], exec
	s_waitcnt vmcnt(0)
	v_subrev_u32_e32 v14, s16, v2
	v_cmp_lt_i32_e64 s[0:1], -1, v14
	v_cmp_gt_i32_e64 s[2:3], s14, v14
	s_and_b64 s[0:1], s[0:1], s[2:3]
	s_and_saveexec_b64 s[2:3], s[0:1]
	s_cbranch_execz .LBB13_6
; %bb.8:                                ;   in Loop: Header=BB13_7 Depth=1
	v_lshlrev_b64 v[0:1], 4, v[0:1]
	v_mov_b32_e32 v2, s7
	v_add_co_u32_e64 v0, s[0:1], s6, v0
	v_addc_co_u32_e64 v1, s[0:1], v2, v1, s[0:1]
	global_load_dwordx4 v[0:3], v[0:1], off glc slc
	v_lshlrev_b64 v[4:5], 4, v[14:15]
	v_mov_b32_e32 v6, s11
	v_add_co_u32_e64 v16, s[0:1], s10, v4
	v_addc_co_u32_e64 v17, s[0:1], v6, v5, s[0:1]
	global_load_dwordx2 v[6:7], v[16:17], off
	s_mov_b64 s[18:19], 0
	s_waitcnt vmcnt(1)
	v_xor_b32_e32 v4, 0x80000000, v3
	v_cndmask_b32_e32 v3, v3, v4, vcc
	v_mul_f64 v[18:19], v[2:3], -v[12:13]
	v_fmac_f64_e32 v[18:19], v[10:11], v[0:1]
.LBB13_9:                               ;   Parent Loop BB13_7 Depth=1
                                        ; =>  This Inner Loop Header: Depth=2
	s_waitcnt vmcnt(0)
	v_add_f64 v[4:5], v[6:7], v[18:19]
	global_atomic_cmpswap_x2 v[4:5], v[16:17], v[4:7], off glc
	s_waitcnt vmcnt(0)
	v_cmp_eq_u64_e64 s[0:1], v[4:5], v[6:7]
	s_or_b64 s[18:19], s[0:1], s[18:19]
	v_pk_mov_b32 v[6:7], v[4:5], v[4:5] op_sel:[0,1]
	s_andn2_b64 exec, exec, s[18:19]
	s_cbranch_execnz .LBB13_9
; %bb.10:                               ;   in Loop: Header=BB13_7 Depth=1
	s_or_b64 exec, exec, s[18:19]
	global_load_dwordx2 v[4:5], v[16:17], off offset:8
	v_mul_f64 v[6:7], v[10:11], v[2:3]
	v_fmac_f64_e32 v[6:7], v[12:13], v[0:1]
	s_mov_b64 s[18:19], 0
.LBB13_11:                              ;   Parent Loop BB13_7 Depth=1
                                        ; =>  This Inner Loop Header: Depth=2
	s_waitcnt vmcnt(0)
	v_add_f64 v[2:3], v[4:5], v[6:7]
	global_atomic_cmpswap_x2 v[0:1], v[16:17], v[2:5], off offset:8 glc
	s_waitcnt vmcnt(0)
	v_cmp_eq_u64_e64 s[0:1], v[0:1], v[4:5]
	s_or_b64 s[18:19], s[0:1], s[18:19]
	v_pk_mov_b32 v[4:5], v[0:1], v[0:1] op_sel:[0,1]
	s_andn2_b64 exec, exec, s[18:19]
	s_cbranch_execnz .LBB13_11
; %bb.12:                               ;   in Loop: Header=BB13_7 Depth=1
	s_or_b64 exec, exec, s[18:19]
	s_add_i32 s20, s20, 1
	s_cmp_eq_u32 s20, s15
	s_cselect_b64 s[0:1], -1, 0
	s_andn2_b64 s[12:13], s[12:13], exec
	s_and_b64 s[0:1], s[0:1], exec
	s_or_b64 s[12:13], s[12:13], s[0:1]
	s_branch .LBB13_6
.LBB13_13:
	s_endpgm
	.section	.rodata,"a",@progbits
	.p2align	6, 0x0
	.amdhsa_kernel _ZN9rocsparseL13ellmvt_kernelILj1024Ei21rocsparse_complex_numIdES2_S2_S2_EEv20rocsparse_operation_T0_S4_S4_NS_24const_host_device_scalarIT4_EEPKS4_PKT1_PKT2_PT3_21rocsparse_index_base_b
		.amdhsa_group_segment_fixed_size 8192
		.amdhsa_private_segment_fixed_size 0
		.amdhsa_kernarg_size 72
		.amdhsa_user_sgpr_count 8
		.amdhsa_user_sgpr_private_segment_buffer 1
		.amdhsa_user_sgpr_dispatch_ptr 1
		.amdhsa_user_sgpr_queue_ptr 0
		.amdhsa_user_sgpr_kernarg_segment_ptr 1
		.amdhsa_user_sgpr_dispatch_id 0
		.amdhsa_user_sgpr_flat_scratch_init 0
		.amdhsa_user_sgpr_kernarg_preload_length 0
		.amdhsa_user_sgpr_kernarg_preload_offset 0
		.amdhsa_user_sgpr_private_segment_size 0
		.amdhsa_uses_dynamic_stack 0
		.amdhsa_system_sgpr_private_segment_wavefront_offset 0
		.amdhsa_system_sgpr_workgroup_id_x 1
		.amdhsa_system_sgpr_workgroup_id_y 0
		.amdhsa_system_sgpr_workgroup_id_z 0
		.amdhsa_system_sgpr_workgroup_info 0
		.amdhsa_system_vgpr_workitem_id 2
		.amdhsa_next_free_vgpr 22
		.amdhsa_next_free_sgpr 21
		.amdhsa_accum_offset 24
		.amdhsa_reserve_vcc 1
		.amdhsa_reserve_flat_scratch 0
		.amdhsa_float_round_mode_32 0
		.amdhsa_float_round_mode_16_64 0
		.amdhsa_float_denorm_mode_32 3
		.amdhsa_float_denorm_mode_16_64 3
		.amdhsa_dx10_clamp 1
		.amdhsa_ieee_mode 1
		.amdhsa_fp16_overflow 0
		.amdhsa_tg_split 0
		.amdhsa_exception_fp_ieee_invalid_op 0
		.amdhsa_exception_fp_denorm_src 0
		.amdhsa_exception_fp_ieee_div_zero 0
		.amdhsa_exception_fp_ieee_overflow 0
		.amdhsa_exception_fp_ieee_underflow 0
		.amdhsa_exception_fp_ieee_inexact 0
		.amdhsa_exception_int_div_zero 0
	.end_amdhsa_kernel
	.section	.text._ZN9rocsparseL13ellmvt_kernelILj1024Ei21rocsparse_complex_numIdES2_S2_S2_EEv20rocsparse_operation_T0_S4_S4_NS_24const_host_device_scalarIT4_EEPKS4_PKT1_PKT2_PT3_21rocsparse_index_base_b,"axG",@progbits,_ZN9rocsparseL13ellmvt_kernelILj1024Ei21rocsparse_complex_numIdES2_S2_S2_EEv20rocsparse_operation_T0_S4_S4_NS_24const_host_device_scalarIT4_EEPKS4_PKT1_PKT2_PT3_21rocsparse_index_base_b,comdat
.Lfunc_end13:
	.size	_ZN9rocsparseL13ellmvt_kernelILj1024Ei21rocsparse_complex_numIdES2_S2_S2_EEv20rocsparse_operation_T0_S4_S4_NS_24const_host_device_scalarIT4_EEPKS4_PKT1_PKT2_PT3_21rocsparse_index_base_b, .Lfunc_end13-_ZN9rocsparseL13ellmvt_kernelILj1024Ei21rocsparse_complex_numIdES2_S2_S2_EEv20rocsparse_operation_T0_S4_S4_NS_24const_host_device_scalarIT4_EEPKS4_PKT1_PKT2_PT3_21rocsparse_index_base_b
                                        ; -- End function
	.section	.AMDGPU.csdata,"",@progbits
; Kernel info:
; codeLenInByte = 724
; NumSgprs: 25
; NumVgprs: 22
; NumAgprs: 0
; TotalNumVgprs: 22
; ScratchSize: 0
; MemoryBound: 0
; FloatMode: 240
; IeeeMode: 1
; LDSByteSize: 8192 bytes/workgroup (compile time only)
; SGPRBlocks: 3
; VGPRBlocks: 2
; NumSGPRsForWavesPerEU: 25
; NumVGPRsForWavesPerEU: 22
; AccumOffset: 24
; Occupancy: 8
; WaveLimiterHint : 1
; COMPUTE_PGM_RSRC2:SCRATCH_EN: 0
; COMPUTE_PGM_RSRC2:USER_SGPR: 8
; COMPUTE_PGM_RSRC2:TRAP_HANDLER: 0
; COMPUTE_PGM_RSRC2:TGID_X_EN: 1
; COMPUTE_PGM_RSRC2:TGID_Y_EN: 0
; COMPUTE_PGM_RSRC2:TGID_Z_EN: 0
; COMPUTE_PGM_RSRC2:TIDIG_COMP_CNT: 2
; COMPUTE_PGM_RSRC3_GFX90A:ACCUM_OFFSET: 5
; COMPUTE_PGM_RSRC3_GFX90A:TG_SPLIT: 0
	.section	.text._ZN9rocsparseL13ellmvn_kernelILj512El21rocsparse_complex_numIdES2_S2_S2_EEvT0_S3_S3_NS_24const_host_device_scalarIT4_EEPKS3_PKT1_PKT2_S6_PT3_21rocsparse_index_base_b,"axG",@progbits,_ZN9rocsparseL13ellmvn_kernelILj512El21rocsparse_complex_numIdES2_S2_S2_EEvT0_S3_S3_NS_24const_host_device_scalarIT4_EEPKS3_PKT1_PKT2_S6_PT3_21rocsparse_index_base_b,comdat
	.globl	_ZN9rocsparseL13ellmvn_kernelILj512El21rocsparse_complex_numIdES2_S2_S2_EEvT0_S3_S3_NS_24const_host_device_scalarIT4_EEPKS3_PKT1_PKT2_S6_PT3_21rocsparse_index_base_b ; -- Begin function _ZN9rocsparseL13ellmvn_kernelILj512El21rocsparse_complex_numIdES2_S2_S2_EEvT0_S3_S3_NS_24const_host_device_scalarIT4_EEPKS3_PKT1_PKT2_S6_PT3_21rocsparse_index_base_b
	.p2align	8
	.type	_ZN9rocsparseL13ellmvn_kernelILj512El21rocsparse_complex_numIdES2_S2_S2_EEvT0_S3_S3_NS_24const_host_device_scalarIT4_EEPKS3_PKT1_PKT2_S6_PT3_21rocsparse_index_base_b,@function
_ZN9rocsparseL13ellmvn_kernelILj512El21rocsparse_complex_numIdES2_S2_S2_EEvT0_S3_S3_NS_24const_host_device_scalarIT4_EEPKS3_PKT1_PKT2_S6_PT3_21rocsparse_index_base_b: ; @_ZN9rocsparseL13ellmvn_kernelILj512El21rocsparse_complex_numIdES2_S2_S2_EEvT0_S3_S3_NS_24const_host_device_scalarIT4_EEPKS3_PKT1_PKT2_S6_PT3_21rocsparse_index_base_b
; %bb.0:
	s_load_dwordx2 s[2:3], s[6:7], 0x58
	s_load_dwordx8 s[12:19], s[6:7], 0x0
	s_load_dwordx2 s[10:11], s[4:5], 0x4
	s_mov_b64 s[4:5], src_shared_base
	s_load_dwordx4 s[20:23], s[6:7], 0x40
	s_load_dwordx2 s[24:25], s[6:7], 0x20
	s_waitcnt lgkmcnt(0)
	s_bitcmp1_b32 s3, 0
	s_cselect_b64 s[0:1], -1, 0
	s_and_b64 vcc, s[0:1], exec
	s_cselect_b32 s3, s5, s19
	s_lshr_b32 s4, s10, 16
	v_and_b32_e32 v8, 0x3ff, v0
	s_mul_i32 s4, s4, s11
	v_mul_lo_u32 v1, s4, v8
	v_bfe_u32 v2, v0, 10, 10
	v_mad_u32_u24 v1, v2, s11, v1
	v_bfe_u32 v0, v0, 20, 10
	v_add_lshl_u32 v4, v1, v0, 3
	v_mov_b32_e32 v5, s18
	v_add_u32_e32 v6, 0x1000, v4
	v_pk_mov_b32 v[0:1], s[18:19], s[18:19] op_sel:[0,1]
	v_pk_mov_b32 v[2:3], s[20:21], s[20:21] op_sel:[0,1]
	ds_write2st64_b64 v4, v[2:3], v[0:1] offset1:8
	v_cndmask_b32_e64 v0, v5, v6, s[0:1]
	v_mov_b32_e32 v1, s3
	flat_load_dwordx2 v[0:1], v[0:1]
	s_xor_b64 s[10:11], s[0:1], -1
	v_pk_mov_b32 v[2:3], s[24:25], s[24:25] op_sel:[0,1]
	s_cbranch_vccnz .LBB14_2
; %bb.1:
	v_pk_mov_b32 v[2:3], s[18:19], s[18:19] op_sel:[0,1]
	flat_load_dwordx2 v[2:3], v[2:3] offset:8
.LBB14_2:
	s_and_b64 s[18:19], s[0:1], exec
	s_cselect_b32 s3, s5, s21
	v_mov_b32_e32 v5, s20
	v_cndmask_b32_e64 v4, v5, v4, s[0:1]
	v_mov_b32_e32 v5, s3
	flat_load_dwordx2 v[4:5], v[4:5]
	s_andn2_b64 vcc, exec, s[10:11]
	v_pk_mov_b32 v[6:7], s[22:23], s[22:23] op_sel:[0,1]
	s_cbranch_vccnz .LBB14_4
; %bb.3:
	v_pk_mov_b32 v[6:7], s[20:21], s[20:21] op_sel:[0,1]
	flat_load_dwordx2 v[6:7], v[6:7] offset:8
.LBB14_4:
	s_waitcnt vmcnt(0) lgkmcnt(0)
	v_cmp_eq_f64_e32 vcc, 0, v[0:1]
	v_cmp_eq_f64_e64 s[0:1], 0, v[2:3]
	s_and_b64 s[10:11], vcc, s[0:1]
	s_mov_b64 s[0:1], -1
	s_and_saveexec_b64 s[4:5], s[10:11]
; %bb.5:
	v_cmp_neq_f64_e32 vcc, 1.0, v[4:5]
	v_cmp_neq_f64_e64 s[0:1], 0, v[6:7]
	s_or_b64 s[0:1], vcc, s[0:1]
	s_orn2_b64 s[0:1], s[0:1], exec
; %bb.6:
	s_or_b64 exec, exec, s[4:5]
	s_and_saveexec_b64 s[4:5], s[0:1]
	s_cbranch_execz .LBB14_18
; %bb.7:
	v_lshl_or_b32 v14, s8, 9, v8
	v_mov_b32_e32 v15, 0
	v_cmp_gt_i64_e32 vcc, s[12:13], v[14:15]
	s_and_b64 exec, exec, vcc
	s_cbranch_execz .LBB14_18
; %bb.8:
	s_load_dwordx2 s[4:5], s[6:7], 0x50
	v_cmp_lt_i64_e64 s[0:1], s[16:17], 1
	v_pk_mov_b32 v[10:11], 0, 0
	s_mov_b64 s[8:9], 0
	s_and_b64 vcc, exec, s[0:1]
	v_lshlrev_b64 v[8:9], 4, v[14:15]
	v_pk_mov_b32 v[12:13], v[10:11], v[10:11] op_sel:[0,1]
	s_cbranch_vccnz .LBB14_14
; %bb.9:
	s_load_dwordx4 s[20:23], s[6:7], 0x28
	s_load_dwordx2 s[10:11], s[6:7], 0x38
	v_lshlrev_b64 v[10:11], 3, v[14:15]
	s_mov_b32 s0, 0
	s_lshl_b64 s[6:7], s[12:13], 3
	s_waitcnt lgkmcnt(0)
	v_mov_b32_e32 v12, s21
	v_add_co_u32_e32 v14, vcc, s20, v10
	v_addc_co_u32_e32 v15, vcc, v12, v11, vcc
	v_mov_b32_e32 v10, s23
	v_add_co_u32_e32 v11, vcc, s22, v8
	v_addc_co_u32_e32 v10, vcc, v9, v10, vcc
	v_add_co_u32_e32 v16, vcc, 8, v11
	v_addc_co_u32_e32 v17, vcc, 0, v10, vcc
	v_pk_mov_b32 v[10:11], 0, 0
	s_lshl_b64 s[12:13], s[12:13], 4
	v_mov_b32_e32 v20, s0
	v_pk_mov_b32 v[12:13], v[10:11], v[10:11] op_sel:[0,1]
                                        ; implicit-def: $sgpr18_sgpr19
	s_branch .LBB14_11
.LBB14_10:                              ;   in Loop: Header=BB14_11 Depth=1
	s_or_b64 exec, exec, s[0:1]
	s_and_b64 s[0:1], exec, s[18:19]
	s_or_b64 s[8:9], s[0:1], s[8:9]
	s_andn2_b64 exec, exec, s[8:9]
	s_cbranch_execz .LBB14_13
.LBB14_11:                              ; =>This Inner Loop Header: Depth=1
	global_load_dwordx2 v[18:19], v[14:15], off glc slc
	s_or_b64 s[18:19], s[18:19], exec
	s_waitcnt vmcnt(0)
	v_subrev_co_u32_e32 v18, vcc, s2, v18
	v_subb_co_u32_e32 v19, vcc, v19, v20, vcc
	v_cmp_lt_i64_e32 vcc, -1, v[18:19]
	v_cmp_gt_i64_e64 s[0:1], s[14:15], v[18:19]
	s_and_b64 s[20:21], vcc, s[0:1]
	s_and_saveexec_b64 s[0:1], s[20:21]
	s_cbranch_execz .LBB14_10
; %bb.12:                               ;   in Loop: Header=BB14_11 Depth=1
	v_lshlrev_b64 v[18:19], 4, v[18:19]
	v_mov_b32_e32 v21, s11
	v_add_co_u32_e32 v18, vcc, s10, v18
	v_addc_co_u32_e32 v19, vcc, v21, v19, vcc
	global_load_dwordx4 v[22:25], v[16:17], off offset:-8 glc slc
	global_load_dwordx4 v[26:29], v[18:19], off
	s_add_u32 s16, s16, -1
	s_addc_u32 s17, s17, -1
	v_mov_b32_e32 v18, s7
	v_add_co_u32_e32 v14, vcc, s6, v14
	s_cmp_eq_u64 s[16:17], 0
	v_addc_co_u32_e32 v15, vcc, v15, v18, vcc
	s_cselect_b64 s[20:21], -1, 0
	v_mov_b32_e32 v19, s13
	v_add_co_u32_e32 v16, vcc, s12, v16
	s_andn2_b64 s[18:19], s[18:19], exec
	s_and_b64 s[20:21], s[20:21], exec
	v_addc_co_u32_e32 v17, vcc, v17, v19, vcc
	s_or_b64 s[18:19], s[18:19], s[20:21]
	s_waitcnt vmcnt(0)
	v_fmac_f64_e32 v[12:13], v[22:23], v[26:27]
	v_fmac_f64_e32 v[10:11], v[24:25], v[26:27]
	v_fma_f64 v[12:13], -v[24:25], v[28:29], v[12:13]
	v_fmac_f64_e32 v[10:11], v[22:23], v[28:29]
	s_branch .LBB14_10
.LBB14_13:
	s_or_b64 exec, exec, s[8:9]
.LBB14_14:
	v_cmp_eq_f64_e32 vcc, 0, v[4:5]
	v_cmp_eq_f64_e64 s[0:1], 0, v[6:7]
	s_and_b64 s[0:1], vcc, s[0:1]
	s_and_saveexec_b64 s[2:3], s[0:1]
	s_xor_b64 s[0:1], exec, s[2:3]
	s_cbranch_execz .LBB14_16
; %bb.15:
	v_mul_f64 v[4:5], v[10:11], -v[2:3]
	v_fmac_f64_e32 v[4:5], v[0:1], v[12:13]
	v_mul_f64 v[6:7], v[0:1], v[10:11]
	s_waitcnt lgkmcnt(0)
	v_mov_b32_e32 v1, s5
	v_add_co_u32_e32 v0, vcc, s4, v8
	v_fmac_f64_e32 v[6:7], v[2:3], v[12:13]
	v_addc_co_u32_e32 v1, vcc, v1, v9, vcc
	global_store_dwordx4 v[0:1], v[4:7], off glc slc
                                        ; implicit-def: $vgpr8_vgpr9
                                        ; implicit-def: $vgpr10_vgpr11
                                        ; implicit-def: $vgpr2_vgpr3
                                        ; implicit-def: $vgpr0_vgpr1
                                        ; implicit-def: $vgpr12_vgpr13
                                        ; implicit-def: $vgpr4_vgpr5
                                        ; implicit-def: $vgpr6_vgpr7
.LBB14_16:
	s_andn2_saveexec_b64 s[0:1], s[0:1]
	s_cbranch_execz .LBB14_18
; %bb.17:
	s_waitcnt lgkmcnt(0)
	v_mov_b32_e32 v14, s5
	v_add_co_u32_e32 v18, vcc, s4, v8
	v_addc_co_u32_e32 v19, vcc, v14, v9, vcc
	global_load_dwordx4 v[14:17], v[18:19], off glc slc
	v_mul_f64 v[20:21], v[10:11], -v[2:3]
	v_mul_f64 v[8:9], v[0:1], v[10:11]
	v_fmac_f64_e32 v[20:21], v[0:1], v[12:13]
	v_fmac_f64_e32 v[8:9], v[2:3], v[12:13]
	s_waitcnt vmcnt(0)
	v_fmac_f64_e32 v[20:21], v[4:5], v[14:15]
	v_fmac_f64_e32 v[8:9], v[6:7], v[14:15]
	v_fma_f64 v[6:7], -v[6:7], v[16:17], v[20:21]
	v_fmac_f64_e32 v[8:9], v[4:5], v[16:17]
	global_store_dwordx4 v[18:19], v[6:9], off glc slc
.LBB14_18:
	s_endpgm
	.section	.rodata,"a",@progbits
	.p2align	6, 0x0
	.amdhsa_kernel _ZN9rocsparseL13ellmvn_kernelILj512El21rocsparse_complex_numIdES2_S2_S2_EEvT0_S3_S3_NS_24const_host_device_scalarIT4_EEPKS3_PKT1_PKT2_S6_PT3_21rocsparse_index_base_b
		.amdhsa_group_segment_fixed_size 8192
		.amdhsa_private_segment_fixed_size 0
		.amdhsa_kernarg_size 96
		.amdhsa_user_sgpr_count 8
		.amdhsa_user_sgpr_private_segment_buffer 1
		.amdhsa_user_sgpr_dispatch_ptr 1
		.amdhsa_user_sgpr_queue_ptr 0
		.amdhsa_user_sgpr_kernarg_segment_ptr 1
		.amdhsa_user_sgpr_dispatch_id 0
		.amdhsa_user_sgpr_flat_scratch_init 0
		.amdhsa_user_sgpr_kernarg_preload_length 0
		.amdhsa_user_sgpr_kernarg_preload_offset 0
		.amdhsa_user_sgpr_private_segment_size 0
		.amdhsa_uses_dynamic_stack 0
		.amdhsa_system_sgpr_private_segment_wavefront_offset 0
		.amdhsa_system_sgpr_workgroup_id_x 1
		.amdhsa_system_sgpr_workgroup_id_y 0
		.amdhsa_system_sgpr_workgroup_id_z 0
		.amdhsa_system_sgpr_workgroup_info 0
		.amdhsa_system_vgpr_workitem_id 2
		.amdhsa_next_free_vgpr 30
		.amdhsa_next_free_sgpr 26
		.amdhsa_accum_offset 32
		.amdhsa_reserve_vcc 1
		.amdhsa_reserve_flat_scratch 0
		.amdhsa_float_round_mode_32 0
		.amdhsa_float_round_mode_16_64 0
		.amdhsa_float_denorm_mode_32 3
		.amdhsa_float_denorm_mode_16_64 3
		.amdhsa_dx10_clamp 1
		.amdhsa_ieee_mode 1
		.amdhsa_fp16_overflow 0
		.amdhsa_tg_split 0
		.amdhsa_exception_fp_ieee_invalid_op 0
		.amdhsa_exception_fp_denorm_src 0
		.amdhsa_exception_fp_ieee_div_zero 0
		.amdhsa_exception_fp_ieee_overflow 0
		.amdhsa_exception_fp_ieee_underflow 0
		.amdhsa_exception_fp_ieee_inexact 0
		.amdhsa_exception_int_div_zero 0
	.end_amdhsa_kernel
	.section	.text._ZN9rocsparseL13ellmvn_kernelILj512El21rocsparse_complex_numIdES2_S2_S2_EEvT0_S3_S3_NS_24const_host_device_scalarIT4_EEPKS3_PKT1_PKT2_S6_PT3_21rocsparse_index_base_b,"axG",@progbits,_ZN9rocsparseL13ellmvn_kernelILj512El21rocsparse_complex_numIdES2_S2_S2_EEvT0_S3_S3_NS_24const_host_device_scalarIT4_EEPKS3_PKT1_PKT2_S6_PT3_21rocsparse_index_base_b,comdat
.Lfunc_end14:
	.size	_ZN9rocsparseL13ellmvn_kernelILj512El21rocsparse_complex_numIdES2_S2_S2_EEvT0_S3_S3_NS_24const_host_device_scalarIT4_EEPKS3_PKT1_PKT2_S6_PT3_21rocsparse_index_base_b, .Lfunc_end14-_ZN9rocsparseL13ellmvn_kernelILj512El21rocsparse_complex_numIdES2_S2_S2_EEvT0_S3_S3_NS_24const_host_device_scalarIT4_EEPKS3_PKT1_PKT2_S6_PT3_21rocsparse_index_base_b
                                        ; -- End function
	.section	.AMDGPU.csdata,"",@progbits
; Kernel info:
; codeLenInByte = 860
; NumSgprs: 30
; NumVgprs: 30
; NumAgprs: 0
; TotalNumVgprs: 30
; ScratchSize: 0
; MemoryBound: 0
; FloatMode: 240
; IeeeMode: 1
; LDSByteSize: 8192 bytes/workgroup (compile time only)
; SGPRBlocks: 3
; VGPRBlocks: 3
; NumSGPRsForWavesPerEU: 30
; NumVGPRsForWavesPerEU: 30
; AccumOffset: 32
; Occupancy: 8
; WaveLimiterHint : 1
; COMPUTE_PGM_RSRC2:SCRATCH_EN: 0
; COMPUTE_PGM_RSRC2:USER_SGPR: 8
; COMPUTE_PGM_RSRC2:TRAP_HANDLER: 0
; COMPUTE_PGM_RSRC2:TGID_X_EN: 1
; COMPUTE_PGM_RSRC2:TGID_Y_EN: 0
; COMPUTE_PGM_RSRC2:TGID_Z_EN: 0
; COMPUTE_PGM_RSRC2:TIDIG_COMP_CNT: 2
; COMPUTE_PGM_RSRC3_GFX90A:ACCUM_OFFSET: 7
; COMPUTE_PGM_RSRC3_GFX90A:TG_SPLIT: 0
	.section	.text._ZN9rocsparseL13ellmvt_kernelILj1024El21rocsparse_complex_numIdES2_S2_S2_EEv20rocsparse_operation_T0_S4_S4_NS_24const_host_device_scalarIT4_EEPKS4_PKT1_PKT2_PT3_21rocsparse_index_base_b,"axG",@progbits,_ZN9rocsparseL13ellmvt_kernelILj1024El21rocsparse_complex_numIdES2_S2_S2_EEv20rocsparse_operation_T0_S4_S4_NS_24const_host_device_scalarIT4_EEPKS4_PKT1_PKT2_PT3_21rocsparse_index_base_b,comdat
	.globl	_ZN9rocsparseL13ellmvt_kernelILj1024El21rocsparse_complex_numIdES2_S2_S2_EEv20rocsparse_operation_T0_S4_S4_NS_24const_host_device_scalarIT4_EEPKS4_PKT1_PKT2_PT3_21rocsparse_index_base_b ; -- Begin function _ZN9rocsparseL13ellmvt_kernelILj1024El21rocsparse_complex_numIdES2_S2_S2_EEv20rocsparse_operation_T0_S4_S4_NS_24const_host_device_scalarIT4_EEPKS4_PKT1_PKT2_PT3_21rocsparse_index_base_b
	.p2align	8
	.type	_ZN9rocsparseL13ellmvt_kernelILj1024El21rocsparse_complex_numIdES2_S2_S2_EEv20rocsparse_operation_T0_S4_S4_NS_24const_host_device_scalarIT4_EEPKS4_PKT1_PKT2_PT3_21rocsparse_index_base_b,@function
_ZN9rocsparseL13ellmvt_kernelILj1024El21rocsparse_complex_numIdES2_S2_S2_EEv20rocsparse_operation_T0_S4_S4_NS_24const_host_device_scalarIT4_EEPKS4_PKT1_PKT2_PT3_21rocsparse_index_base_b: ; @_ZN9rocsparseL13ellmvt_kernelILj1024El21rocsparse_complex_numIdES2_S2_S2_EEv20rocsparse_operation_T0_S4_S4_NS_24const_host_device_scalarIT4_EEPKS4_PKT1_PKT2_PT3_21rocsparse_index_base_b
; %bb.0:
	s_load_dwordx2 s[10:11], s[6:7], 0x50
	s_load_dwordx2 s[0:1], s[4:5], 0x4
	s_load_dwordx8 s[12:19], s[6:7], 0x8
	v_and_b32_e32 v4, 0x3ff, v0
	v_bfe_u32 v2, v0, 10, 10
	s_waitcnt lgkmcnt(0)
	s_and_b32 s2, 1, s11
	s_lshr_b32 s0, s0, 16
	s_mul_i32 s0, s0, s1
	v_mul_lo_u32 v1, s0, v4
	s_cmp_eq_u32 s2, 1
	v_mad_u32_u24 v1, v2, s1, v1
	v_bfe_u32 v0, v0, 20, 10
	v_add_lshl_u32 v2, v1, v0, 3
	v_pk_mov_b32 v[0:1], s[18:19], s[18:19] op_sel:[0,1]
	s_cselect_b64 vcc, -1, 0
	ds_write_b64 v2, v[0:1]
	s_mov_b64 s[0:1], src_shared_base
	v_cndmask_b32_e32 v0, v0, v2, vcc
	s_and_b64 vcc, vcc, exec
	s_cselect_b32 s0, s1, s19
	v_mov_b32_e32 v1, s0
	flat_load_dwordx2 v[0:1], v[0:1]
	s_load_dwordx2 s[0:1], s[6:7], 0x28
	s_waitcnt lgkmcnt(0)
	v_pk_mov_b32 v[2:3], s[0:1], s[0:1] op_sel:[0,1]
	s_cbranch_vccnz .LBB15_2
; %bb.1:
	v_pk_mov_b32 v[2:3], s[18:19], s[18:19] op_sel:[0,1]
	flat_load_dwordx2 v[2:3], v[2:3] offset:8
.LBB15_2:
	s_waitcnt vmcnt(0)
	v_cmp_neq_f64_e32 vcc, 0, v[0:1]
	s_waitcnt lgkmcnt(0)
	v_cmp_neq_f64_e64 s[0:1], 0, v[2:3]
	s_or_b64 s[0:1], vcc, s[0:1]
	s_and_saveexec_b64 s[2:3], s[0:1]
	s_cbranch_execz .LBB15_13
; %bb.3:
	v_lshl_or_b32 v8, s8, 10, v4
	v_mov_b32_e32 v9, 0
	v_cmp_gt_i64_e32 vcc, s[12:13], v[8:9]
	s_and_b64 exec, exec, vcc
	s_cbranch_execz .LBB15_13
; %bb.4:
	v_cmp_lt_i64_e64 s[0:1], s[16:17], 1
	s_and_b64 vcc, exec, s[0:1]
	s_cbranch_vccnz .LBB15_13
; %bb.5:
	s_load_dwordx8 s[20:27], s[6:7], 0x30
	v_lshlrev_b64 v[4:5], 4, v[8:9]
	s_load_dword s0, s[6:7], 0x0
	s_mov_b32 s1, 0
	s_mov_b64 s[4:5], 0
	s_waitcnt lgkmcnt(0)
	v_mov_b32_e32 v6, s25
	v_add_co_u32_e32 v4, vcc, s24, v4
	v_addc_co_u32_e32 v5, vcc, v6, v5, vcc
	global_load_dwordx4 v[4:7], v[4:5], off
	s_cmpk_eq_i32 s0, 0x71
	v_mov_b32_e32 v18, s12
	v_mov_b32_e32 v19, s1
	;; [unrolled: 1-line block ×3, first 2 shown]
	s_cselect_b64 vcc, -1, 0
	s_mov_b64 s[8:9], 0
                                        ; implicit-def: $sgpr6_sgpr7
	s_waitcnt vmcnt(0)
	v_mul_f64 v[10:11], v[6:7], -v[2:3]
	v_mul_f64 v[12:13], v[0:1], v[6:7]
	v_fmac_f64_e32 v[10:11], v[0:1], v[4:5]
	v_fmac_f64_e32 v[12:13], v[2:3], v[4:5]
	s_branch .LBB15_7
.LBB15_6:                               ;   in Loop: Header=BB15_7 Depth=1
	s_or_b64 exec, exec, s[2:3]
	s_and_b64 s[0:1], exec, s[6:7]
	s_or_b64 s[4:5], s[0:1], s[4:5]
	s_andn2_b64 exec, exec, s[4:5]
	s_cbranch_execz .LBB15_13
.LBB15_7:                               ; =>This Loop Header: Depth=1
                                        ;     Child Loop BB15_9 Depth 2
                                        ;     Child Loop BB15_11 Depth 2
	s_mul_i32 s0, s9, s12
	s_mul_i32 s1, s8, s13
	s_add_i32 s2, s1, s0
	v_mad_u64_u32 v[0:1], s[0:1], s8, v18, v[8:9]
	v_add_u32_e32 v1, s2, v1
	v_lshlrev_b64 v[2:3], 3, v[0:1]
	v_add_co_u32_e64 v2, s[0:1], s20, v2
	v_addc_co_u32_e64 v3, s[0:1], v20, v3, s[0:1]
	global_load_dwordx2 v[2:3], v[2:3], off glc slc
	s_or_b64 s[6:7], s[6:7], exec
	s_waitcnt vmcnt(0)
	v_subrev_co_u32_e64 v4, s[0:1], s10, v2
	v_subb_co_u32_e64 v5, s[0:1], v3, v19, s[0:1]
	v_cmp_lt_i64_e64 s[0:1], -1, v[4:5]
	v_cmp_gt_i64_e64 s[2:3], s[14:15], v[4:5]
	s_and_b64 s[0:1], s[0:1], s[2:3]
	s_and_saveexec_b64 s[2:3], s[0:1]
	s_cbranch_execz .LBB15_6
; %bb.8:                                ;   in Loop: Header=BB15_7 Depth=1
	v_lshlrev_b64 v[0:1], 4, v[0:1]
	v_mov_b32_e32 v2, s23
	v_add_co_u32_e64 v0, s[0:1], s22, v0
	v_addc_co_u32_e64 v1, s[0:1], v2, v1, s[0:1]
	global_load_dwordx4 v[0:3], v[0:1], off glc slc
	v_lshlrev_b64 v[4:5], 4, v[4:5]
	v_mov_b32_e32 v6, s27
	v_add_co_u32_e64 v14, s[0:1], s26, v4
	v_addc_co_u32_e64 v15, s[0:1], v6, v5, s[0:1]
	global_load_dwordx2 v[6:7], v[14:15], off
	s_mov_b64 s[18:19], 0
	s_waitcnt vmcnt(1)
	v_xor_b32_e32 v4, 0x80000000, v3
	v_cndmask_b32_e32 v3, v3, v4, vcc
	v_mul_f64 v[16:17], v[2:3], -v[12:13]
	v_fmac_f64_e32 v[16:17], v[10:11], v[0:1]
.LBB15_9:                               ;   Parent Loop BB15_7 Depth=1
                                        ; =>  This Inner Loop Header: Depth=2
	s_waitcnt vmcnt(0)
	v_add_f64 v[4:5], v[6:7], v[16:17]
	global_atomic_cmpswap_x2 v[4:5], v[14:15], v[4:7], off glc
	s_waitcnt vmcnt(0)
	v_cmp_eq_u64_e64 s[0:1], v[4:5], v[6:7]
	s_or_b64 s[18:19], s[0:1], s[18:19]
	v_pk_mov_b32 v[6:7], v[4:5], v[4:5] op_sel:[0,1]
	s_andn2_b64 exec, exec, s[18:19]
	s_cbranch_execnz .LBB15_9
; %bb.10:                               ;   in Loop: Header=BB15_7 Depth=1
	s_or_b64 exec, exec, s[18:19]
	global_load_dwordx2 v[4:5], v[14:15], off offset:8
	v_mul_f64 v[6:7], v[10:11], v[2:3]
	v_fmac_f64_e32 v[6:7], v[12:13], v[0:1]
	s_mov_b64 s[18:19], 0
.LBB15_11:                              ;   Parent Loop BB15_7 Depth=1
                                        ; =>  This Inner Loop Header: Depth=2
	s_waitcnt vmcnt(0)
	v_add_f64 v[2:3], v[4:5], v[6:7]
	global_atomic_cmpswap_x2 v[0:1], v[14:15], v[2:5], off offset:8 glc
	s_waitcnt vmcnt(0)
	v_cmp_eq_u64_e64 s[0:1], v[0:1], v[4:5]
	s_or_b64 s[18:19], s[0:1], s[18:19]
	v_pk_mov_b32 v[4:5], v[0:1], v[0:1] op_sel:[0,1]
	s_andn2_b64 exec, exec, s[18:19]
	s_cbranch_execnz .LBB15_11
; %bb.12:                               ;   in Loop: Header=BB15_7 Depth=1
	s_or_b64 exec, exec, s[18:19]
	s_add_u32 s8, s8, 1
	s_addc_u32 s9, s9, 0
	s_cmp_eq_u64 s[8:9], s[16:17]
	s_cselect_b64 s[0:1], -1, 0
	s_andn2_b64 s[6:7], s[6:7], exec
	s_and_b64 s[0:1], s[0:1], exec
	s_or_b64 s[6:7], s[6:7], s[0:1]
	s_branch .LBB15_6
.LBB15_13:
	s_endpgm
	.section	.rodata,"a",@progbits
	.p2align	6, 0x0
	.amdhsa_kernel _ZN9rocsparseL13ellmvt_kernelILj1024El21rocsparse_complex_numIdES2_S2_S2_EEv20rocsparse_operation_T0_S4_S4_NS_24const_host_device_scalarIT4_EEPKS4_PKT1_PKT2_PT3_21rocsparse_index_base_b
		.amdhsa_group_segment_fixed_size 8192
		.amdhsa_private_segment_fixed_size 0
		.amdhsa_kernarg_size 88
		.amdhsa_user_sgpr_count 8
		.amdhsa_user_sgpr_private_segment_buffer 1
		.amdhsa_user_sgpr_dispatch_ptr 1
		.amdhsa_user_sgpr_queue_ptr 0
		.amdhsa_user_sgpr_kernarg_segment_ptr 1
		.amdhsa_user_sgpr_dispatch_id 0
		.amdhsa_user_sgpr_flat_scratch_init 0
		.amdhsa_user_sgpr_kernarg_preload_length 0
		.amdhsa_user_sgpr_kernarg_preload_offset 0
		.amdhsa_user_sgpr_private_segment_size 0
		.amdhsa_uses_dynamic_stack 0
		.amdhsa_system_sgpr_private_segment_wavefront_offset 0
		.amdhsa_system_sgpr_workgroup_id_x 1
		.amdhsa_system_sgpr_workgroup_id_y 0
		.amdhsa_system_sgpr_workgroup_id_z 0
		.amdhsa_system_sgpr_workgroup_info 0
		.amdhsa_system_vgpr_workitem_id 2
		.amdhsa_next_free_vgpr 21
		.amdhsa_next_free_sgpr 28
		.amdhsa_accum_offset 24
		.amdhsa_reserve_vcc 1
		.amdhsa_reserve_flat_scratch 0
		.amdhsa_float_round_mode_32 0
		.amdhsa_float_round_mode_16_64 0
		.amdhsa_float_denorm_mode_32 3
		.amdhsa_float_denorm_mode_16_64 3
		.amdhsa_dx10_clamp 1
		.amdhsa_ieee_mode 1
		.amdhsa_fp16_overflow 0
		.amdhsa_tg_split 0
		.amdhsa_exception_fp_ieee_invalid_op 0
		.amdhsa_exception_fp_denorm_src 0
		.amdhsa_exception_fp_ieee_div_zero 0
		.amdhsa_exception_fp_ieee_overflow 0
		.amdhsa_exception_fp_ieee_underflow 0
		.amdhsa_exception_fp_ieee_inexact 0
		.amdhsa_exception_int_div_zero 0
	.end_amdhsa_kernel
	.section	.text._ZN9rocsparseL13ellmvt_kernelILj1024El21rocsparse_complex_numIdES2_S2_S2_EEv20rocsparse_operation_T0_S4_S4_NS_24const_host_device_scalarIT4_EEPKS4_PKT1_PKT2_PT3_21rocsparse_index_base_b,"axG",@progbits,_ZN9rocsparseL13ellmvt_kernelILj1024El21rocsparse_complex_numIdES2_S2_S2_EEv20rocsparse_operation_T0_S4_S4_NS_24const_host_device_scalarIT4_EEPKS4_PKT1_PKT2_PT3_21rocsparse_index_base_b,comdat
.Lfunc_end15:
	.size	_ZN9rocsparseL13ellmvt_kernelILj1024El21rocsparse_complex_numIdES2_S2_S2_EEv20rocsparse_operation_T0_S4_S4_NS_24const_host_device_scalarIT4_EEPKS4_PKT1_PKT2_PT3_21rocsparse_index_base_b, .Lfunc_end15-_ZN9rocsparseL13ellmvt_kernelILj1024El21rocsparse_complex_numIdES2_S2_S2_EEv20rocsparse_operation_T0_S4_S4_NS_24const_host_device_scalarIT4_EEPKS4_PKT1_PKT2_PT3_21rocsparse_index_base_b
                                        ; -- End function
	.section	.AMDGPU.csdata,"",@progbits
; Kernel info:
; codeLenInByte = 768
; NumSgprs: 32
; NumVgprs: 21
; NumAgprs: 0
; TotalNumVgprs: 21
; ScratchSize: 0
; MemoryBound: 0
; FloatMode: 240
; IeeeMode: 1
; LDSByteSize: 8192 bytes/workgroup (compile time only)
; SGPRBlocks: 3
; VGPRBlocks: 2
; NumSGPRsForWavesPerEU: 32
; NumVGPRsForWavesPerEU: 21
; AccumOffset: 24
; Occupancy: 8
; WaveLimiterHint : 1
; COMPUTE_PGM_RSRC2:SCRATCH_EN: 0
; COMPUTE_PGM_RSRC2:USER_SGPR: 8
; COMPUTE_PGM_RSRC2:TRAP_HANDLER: 0
; COMPUTE_PGM_RSRC2:TGID_X_EN: 1
; COMPUTE_PGM_RSRC2:TGID_Y_EN: 0
; COMPUTE_PGM_RSRC2:TGID_Z_EN: 0
; COMPUTE_PGM_RSRC2:TIDIG_COMP_CNT: 2
; COMPUTE_PGM_RSRC3_GFX90A:ACCUM_OFFSET: 5
; COMPUTE_PGM_RSRC3_GFX90A:TG_SPLIT: 0
	.section	.text._ZN9rocsparseL13ellmvn_kernelILj512EiaaiiEEvT0_S1_S1_NS_24const_host_device_scalarIT4_EEPKS1_PKT1_PKT2_S4_PT3_21rocsparse_index_base_b,"axG",@progbits,_ZN9rocsparseL13ellmvn_kernelILj512EiaaiiEEvT0_S1_S1_NS_24const_host_device_scalarIT4_EEPKS1_PKT1_PKT2_S4_PT3_21rocsparse_index_base_b,comdat
	.globl	_ZN9rocsparseL13ellmvn_kernelILj512EiaaiiEEvT0_S1_S1_NS_24const_host_device_scalarIT4_EEPKS1_PKT1_PKT2_S4_PT3_21rocsparse_index_base_b ; -- Begin function _ZN9rocsparseL13ellmvn_kernelILj512EiaaiiEEvT0_S1_S1_NS_24const_host_device_scalarIT4_EEPKS1_PKT1_PKT2_S4_PT3_21rocsparse_index_base_b
	.p2align	8
	.type	_ZN9rocsparseL13ellmvn_kernelILj512EiaaiiEEvT0_S1_S1_NS_24const_host_device_scalarIT4_EEPKS1_PKT1_PKT2_S4_PT3_21rocsparse_index_base_b,@function
_ZN9rocsparseL13ellmvn_kernelILj512EiaaiiEEvT0_S1_S1_NS_24const_host_device_scalarIT4_EEPKS1_PKT1_PKT2_S4_PT3_21rocsparse_index_base_b: ; @_ZN9rocsparseL13ellmvn_kernelILj512EiaaiiEEvT0_S1_S1_NS_24const_host_device_scalarIT4_EEPKS1_PKT1_PKT2_S4_PT3_21rocsparse_index_base_b
; %bb.0:
	s_load_dwordx2 s[2:3], s[4:5], 0x40
	s_load_dwordx2 s[10:11], s[4:5], 0x10
	s_mov_b64 s[12:13], -1
	s_waitcnt lgkmcnt(0)
	s_bitcmp1_b32 s3, 0
	s_cselect_b64 s[0:1], -1, 0
	s_xor_b64 s[8:9], s[0:1], -1
	s_and_b64 vcc, exec, s[8:9]
                                        ; implicit-def: $sgpr3
	s_cbranch_vccnz .LBB16_4
; %bb.1:
	s_load_dwordx2 s[0:1], s[4:5], 0x30
	s_andn2_b64 vcc, exec, s[12:13]
	s_cbranch_vccz .LBB16_5
.LBB16_2:
	s_and_b64 vcc, exec, s[8:9]
	s_cbranch_vccz .LBB16_6
.LBB16_3:
	s_waitcnt lgkmcnt(0)
	s_load_dword s18, s[0:1], 0x0
	s_cbranch_execz .LBB16_7
	s_branch .LBB16_8
.LBB16_4:
	s_load_dword s3, s[10:11], 0x0
	s_load_dwordx2 s[0:1], s[4:5], 0x30
	s_cbranch_execnz .LBB16_2
.LBB16_5:
	s_waitcnt lgkmcnt(0)
	s_mov_b32 s3, s10
	s_and_b64 vcc, exec, s[8:9]
	s_cbranch_vccnz .LBB16_3
.LBB16_6:
                                        ; implicit-def: $sgpr18
.LBB16_7:
	s_waitcnt lgkmcnt(0)
	s_mov_b32 s18, s0
.LBB16_8:
	s_waitcnt lgkmcnt(0)
	s_cmp_lg_u32 s3, 0
	s_cselect_b64 s[0:1], -1, 0
	s_cmp_lg_u32 s18, 1
	s_cselect_b64 s[8:9], -1, 0
	s_or_b64 s[0:1], s[0:1], s[8:9]
	s_andn2_b64 vcc, exec, s[0:1]
	s_cbranch_vccnz .LBB16_18
; %bb.9:
	s_load_dwordx4 s[8:11], s[4:5], 0x0
	v_lshl_or_b32 v0, s6, 9, v0
	s_waitcnt lgkmcnt(0)
	v_cmp_gt_i32_e32 vcc, s8, v0
	s_and_saveexec_b64 s[0:1], vcc
	s_cbranch_execz .LBB16_18
; %bb.10:
	s_load_dwordx2 s[6:7], s[4:5], 0x38
	s_cmp_lt_i32 s10, 1
	v_ashrrev_i32_e32 v1, 31, v0
	s_cbranch_scc1 .LBB16_19
; %bb.11:
	s_load_dwordx4 s[20:23], s[4:5], 0x18
	s_load_dwordx2 s[12:13], s[4:5], 0x28
	v_lshlrev_b64 v[2:3], 2, v[0:1]
	s_ashr_i32 s5, s8, 31
	s_mov_b32 s4, s8
	s_waitcnt lgkmcnt(0)
	v_mov_b32_e32 v4, s21
	v_add_co_u32_e32 v2, vcc, s20, v2
	v_addc_co_u32_e32 v3, vcc, v4, v3, vcc
	s_add_i32 s8, s10, -1
	s_lshl_b64 s[10:11], s[4:5], 2
	v_mov_b32_e32 v5, s23
	v_add_co_u32_e32 v4, vcc, s22, v0
	v_addc_co_u32_e32 v5, vcc, v5, v1, vcc
	s_mov_b64 s[14:15], 0
	v_mov_b32_e32 v6, 0
	v_mov_b32_e32 v7, s11
	v_mov_b32_e32 v8, s5
	s_branch .LBB16_13
.LBB16_12:                              ;   in Loop: Header=BB16_13 Depth=1
	s_or_b64 exec, exec, s[16:17]
	s_cmp_eq_u32 s8, 0
	s_cselect_b64 s[16:17], -1, 0
	v_add_co_u32_e32 v2, vcc, s10, v2
	s_or_b64 s[0:1], s[0:1], s[16:17]
	s_add_i32 s8, s8, -1
	v_addc_co_u32_e32 v3, vcc, v3, v7, vcc
	s_and_b64 s[0:1], exec, s[0:1]
	v_add_co_u32_e32 v4, vcc, s4, v4
	s_or_b64 s[14:15], s[0:1], s[14:15]
	v_addc_co_u32_e32 v5, vcc, v5, v8, vcc
	s_andn2_b64 exec, exec, s[14:15]
	s_cbranch_execz .LBB16_15
.LBB16_13:                              ; =>This Inner Loop Header: Depth=1
	global_load_dword v9, v[2:3], off glc slc
	s_waitcnt vmcnt(0)
	v_subrev_u32_e32 v9, s2, v9
	v_cmp_gt_i32_e32 vcc, 0, v9
	v_cmp_le_i32_e64 s[0:1], s9, v9
	s_or_b64 s[0:1], vcc, s[0:1]
	s_xor_b64 s[20:21], s[0:1], -1
	s_and_saveexec_b64 s[16:17], s[20:21]
	s_cbranch_execz .LBB16_12
; %bb.14:                               ;   in Loop: Header=BB16_13 Depth=1
	global_load_sbyte v10, v[4:5], off glc slc
	global_load_sbyte v11, v9, s[12:13]
	s_waitcnt vmcnt(0)
	v_mad_i32_i24 v6, v11, v10, v6
	s_branch .LBB16_12
.LBB16_15:
	s_or_b64 exec, exec, s[14:15]
	s_cmp_eq_u32 s18, 0
	v_mul_lo_u32 v2, v6, s3
	s_cbranch_scc1 .LBB16_20
.LBB16_16:
	v_lshlrev_b64 v[4:5], 2, v[0:1]
	s_waitcnt lgkmcnt(0)
	v_mov_b32_e32 v3, s7
	v_add_co_u32_e32 v4, vcc, s6, v4
	v_addc_co_u32_e32 v5, vcc, v3, v5, vcc
	global_load_dword v3, v[4:5], off glc slc
	s_waitcnt vmcnt(0)
	v_mad_u64_u32 v[6:7], s[0:1], v3, s18, v[2:3]
	global_store_dword v[4:5], v6, off glc slc
	s_cbranch_execnz .LBB16_18
.LBB16_17:
	v_lshlrev_b64 v[0:1], 2, v[0:1]
	s_waitcnt lgkmcnt(0)
	v_mov_b32_e32 v3, s7
	v_add_co_u32_e32 v0, vcc, s6, v0
	v_addc_co_u32_e32 v1, vcc, v3, v1, vcc
	global_store_dword v[0:1], v2, off glc slc
.LBB16_18:
	s_endpgm
.LBB16_19:
	v_mov_b32_e32 v6, 0
	s_cmp_eq_u32 s18, 0
	v_mul_lo_u32 v2, v6, s3
	s_cbranch_scc0 .LBB16_16
.LBB16_20:
	s_branch .LBB16_17
	.section	.rodata,"a",@progbits
	.p2align	6, 0x0
	.amdhsa_kernel _ZN9rocsparseL13ellmvn_kernelILj512EiaaiiEEvT0_S1_S1_NS_24const_host_device_scalarIT4_EEPKS1_PKT1_PKT2_S4_PT3_21rocsparse_index_base_b
		.amdhsa_group_segment_fixed_size 0
		.amdhsa_private_segment_fixed_size 0
		.amdhsa_kernarg_size 72
		.amdhsa_user_sgpr_count 6
		.amdhsa_user_sgpr_private_segment_buffer 1
		.amdhsa_user_sgpr_dispatch_ptr 0
		.amdhsa_user_sgpr_queue_ptr 0
		.amdhsa_user_sgpr_kernarg_segment_ptr 1
		.amdhsa_user_sgpr_dispatch_id 0
		.amdhsa_user_sgpr_flat_scratch_init 0
		.amdhsa_user_sgpr_kernarg_preload_length 0
		.amdhsa_user_sgpr_kernarg_preload_offset 0
		.amdhsa_user_sgpr_private_segment_size 0
		.amdhsa_uses_dynamic_stack 0
		.amdhsa_system_sgpr_private_segment_wavefront_offset 0
		.amdhsa_system_sgpr_workgroup_id_x 1
		.amdhsa_system_sgpr_workgroup_id_y 0
		.amdhsa_system_sgpr_workgroup_id_z 0
		.amdhsa_system_sgpr_workgroup_info 0
		.amdhsa_system_vgpr_workitem_id 0
		.amdhsa_next_free_vgpr 12
		.amdhsa_next_free_sgpr 24
		.amdhsa_accum_offset 12
		.amdhsa_reserve_vcc 1
		.amdhsa_reserve_flat_scratch 0
		.amdhsa_float_round_mode_32 0
		.amdhsa_float_round_mode_16_64 0
		.amdhsa_float_denorm_mode_32 3
		.amdhsa_float_denorm_mode_16_64 3
		.amdhsa_dx10_clamp 1
		.amdhsa_ieee_mode 1
		.amdhsa_fp16_overflow 0
		.amdhsa_tg_split 0
		.amdhsa_exception_fp_ieee_invalid_op 0
		.amdhsa_exception_fp_denorm_src 0
		.amdhsa_exception_fp_ieee_div_zero 0
		.amdhsa_exception_fp_ieee_overflow 0
		.amdhsa_exception_fp_ieee_underflow 0
		.amdhsa_exception_fp_ieee_inexact 0
		.amdhsa_exception_int_div_zero 0
	.end_amdhsa_kernel
	.section	.text._ZN9rocsparseL13ellmvn_kernelILj512EiaaiiEEvT0_S1_S1_NS_24const_host_device_scalarIT4_EEPKS1_PKT1_PKT2_S4_PT3_21rocsparse_index_base_b,"axG",@progbits,_ZN9rocsparseL13ellmvn_kernelILj512EiaaiiEEvT0_S1_S1_NS_24const_host_device_scalarIT4_EEPKS1_PKT1_PKT2_S4_PT3_21rocsparse_index_base_b,comdat
.Lfunc_end16:
	.size	_ZN9rocsparseL13ellmvn_kernelILj512EiaaiiEEvT0_S1_S1_NS_24const_host_device_scalarIT4_EEPKS1_PKT1_PKT2_S4_PT3_21rocsparse_index_base_b, .Lfunc_end16-_ZN9rocsparseL13ellmvn_kernelILj512EiaaiiEEvT0_S1_S1_NS_24const_host_device_scalarIT4_EEPKS1_PKT1_PKT2_S4_PT3_21rocsparse_index_base_b
                                        ; -- End function
	.section	.AMDGPU.csdata,"",@progbits
; Kernel info:
; codeLenInByte = 568
; NumSgprs: 28
; NumVgprs: 12
; NumAgprs: 0
; TotalNumVgprs: 12
; ScratchSize: 0
; MemoryBound: 0
; FloatMode: 240
; IeeeMode: 1
; LDSByteSize: 0 bytes/workgroup (compile time only)
; SGPRBlocks: 3
; VGPRBlocks: 1
; NumSGPRsForWavesPerEU: 28
; NumVGPRsForWavesPerEU: 12
; AccumOffset: 12
; Occupancy: 8
; WaveLimiterHint : 1
; COMPUTE_PGM_RSRC2:SCRATCH_EN: 0
; COMPUTE_PGM_RSRC2:USER_SGPR: 6
; COMPUTE_PGM_RSRC2:TRAP_HANDLER: 0
; COMPUTE_PGM_RSRC2:TGID_X_EN: 1
; COMPUTE_PGM_RSRC2:TGID_Y_EN: 0
; COMPUTE_PGM_RSRC2:TGID_Z_EN: 0
; COMPUTE_PGM_RSRC2:TIDIG_COMP_CNT: 0
; COMPUTE_PGM_RSRC3_GFX90A:ACCUM_OFFSET: 2
; COMPUTE_PGM_RSRC3_GFX90A:TG_SPLIT: 0
	.section	.text._ZN9rocsparseL13ellmvt_kernelILj1024EiaaiiEEv20rocsparse_operation_T0_S2_S2_NS_24const_host_device_scalarIT4_EEPKS2_PKT1_PKT2_PT3_21rocsparse_index_base_b,"axG",@progbits,_ZN9rocsparseL13ellmvt_kernelILj1024EiaaiiEEv20rocsparse_operation_T0_S2_S2_NS_24const_host_device_scalarIT4_EEPKS2_PKT1_PKT2_PT3_21rocsparse_index_base_b,comdat
	.globl	_ZN9rocsparseL13ellmvt_kernelILj1024EiaaiiEEv20rocsparse_operation_T0_S2_S2_NS_24const_host_device_scalarIT4_EEPKS2_PKT1_PKT2_PT3_21rocsparse_index_base_b ; -- Begin function _ZN9rocsparseL13ellmvt_kernelILj1024EiaaiiEEv20rocsparse_operation_T0_S2_S2_NS_24const_host_device_scalarIT4_EEPKS2_PKT1_PKT2_PT3_21rocsparse_index_base_b
	.p2align	8
	.type	_ZN9rocsparseL13ellmvt_kernelILj1024EiaaiiEEv20rocsparse_operation_T0_S2_S2_NS_24const_host_device_scalarIT4_EEPKS2_PKT1_PKT2_PT3_21rocsparse_index_base_b,@function
_ZN9rocsparseL13ellmvt_kernelILj1024EiaaiiEEv20rocsparse_operation_T0_S2_S2_NS_24const_host_device_scalarIT4_EEPKS2_PKT1_PKT2_PT3_21rocsparse_index_base_b: ; @_ZN9rocsparseL13ellmvt_kernelILj1024EiaaiiEEv20rocsparse_operation_T0_S2_S2_NS_24const_host_device_scalarIT4_EEPKS2_PKT1_PKT2_PT3_21rocsparse_index_base_b
; %bb.0:
	s_load_dwordx2 s[12:13], s[4:5], 0x38
	s_load_dwordx2 s[0:1], s[4:5], 0x10
	s_waitcnt lgkmcnt(0)
	s_bitcmp0_b32 s13, 0
	s_cbranch_scc0 .LBB17_2
; %bb.1:
	s_load_dword s13, s[0:1], 0x0
	s_cbranch_execz .LBB17_3
	s_branch .LBB17_4
.LBB17_2:
                                        ; implicit-def: $sgpr13
.LBB17_3:
	s_waitcnt lgkmcnt(0)
	s_mov_b32 s13, s0
.LBB17_4:
	s_waitcnt lgkmcnt(0)
	s_cmp_eq_u32 s13, 0
	s_cbranch_scc1 .LBB17_11
; %bb.5:
	s_load_dwordx4 s[8:11], s[4:5], 0x4
	v_lshl_or_b32 v2, s6, 10, v0
	s_waitcnt lgkmcnt(0)
	v_cmp_gt_i32_e32 vcc, s8, v2
	s_and_saveexec_b64 s[0:1], vcc
	s_cbranch_execz .LBB17_11
; %bb.6:
	s_cmp_lt_i32 s10, 1
	s_cbranch_scc1 .LBB17_11
; %bb.7:
	s_load_dwordx8 s[0:7], s[4:5], 0x18
	v_ashrrev_i32_e32 v3, 31, v2
	s_mov_b64 s[14:15], 0
	s_waitcnt lgkmcnt(0)
	v_mov_b32_e32 v1, s5
	v_add_co_u32_e32 v0, vcc, s4, v2
	v_addc_co_u32_e32 v1, vcc, v1, v3, vcc
	global_load_sbyte v4, v[0:1], off
	v_lshlrev_b64 v[0:1], 2, v[2:3]
	v_mov_b32_e32 v5, s1
	v_add_co_u32_e32 v0, vcc, s0, v0
	v_addc_co_u32_e32 v1, vcc, v5, v1, vcc
	s_ashr_i32 s5, s8, 31
	s_mov_b32 s4, s8
	v_mov_b32_e32 v6, s3
	v_add_co_u32_e32 v2, vcc, s2, v2
	s_lshl_b64 s[16:17], s[4:5], 2
	v_addc_co_u32_e32 v3, vcc, v6, v3, vcc
	v_mov_b32_e32 v5, 0
                                        ; implicit-def: $sgpr2_sgpr3
	s_waitcnt vmcnt(0)
	v_mul_lo_u32 v6, s13, v4
	s_branch .LBB17_9
.LBB17_8:                               ;   in Loop: Header=BB17_9 Depth=1
	s_or_b64 exec, exec, s[0:1]
	s_and_b64 s[0:1], exec, s[2:3]
	s_or_b64 s[14:15], s[0:1], s[14:15]
	s_andn2_b64 exec, exec, s[14:15]
	s_cbranch_execz .LBB17_11
.LBB17_9:                               ; =>This Inner Loop Header: Depth=1
	global_load_dword v4, v[0:1], off glc slc
	s_or_b64 s[2:3], s[2:3], exec
	s_waitcnt vmcnt(0)
	v_subrev_u32_e32 v4, s12, v4
	v_cmp_lt_i32_e32 vcc, -1, v4
	v_cmp_gt_i32_e64 s[0:1], s9, v4
	s_and_b64 s[18:19], vcc, s[0:1]
	s_and_saveexec_b64 s[0:1], s[18:19]
	s_cbranch_execz .LBB17_8
; %bb.10:                               ;   in Loop: Header=BB17_9 Depth=1
	global_load_sbyte v7, v[2:3], off glc slc
	v_lshlrev_b64 v[8:9], 2, v[4:5]
	v_mov_b32_e32 v4, s7
	v_add_co_u32_e32 v8, vcc, s6, v8
	v_addc_co_u32_e32 v9, vcc, v4, v9, vcc
	s_add_i32 s10, s10, -1
	v_add_co_u32_e32 v0, vcc, s16, v0
	s_cmp_eq_u32 s10, 0
	s_cselect_b64 s[18:19], -1, 0
	s_andn2_b64 s[2:3], s[2:3], exec
	s_and_b64 s[18:19], s[18:19], exec
	s_or_b64 s[2:3], s[2:3], s[18:19]
	s_waitcnt vmcnt(0)
	v_mul_lo_u32 v4, v6, v7
	global_atomic_add v[8:9], v4, off
	v_mov_b32_e32 v4, s17
	v_addc_co_u32_e32 v1, vcc, v1, v4, vcc
	v_mov_b32_e32 v4, s5
	v_add_co_u32_e32 v2, vcc, s4, v2
	v_addc_co_u32_e32 v3, vcc, v3, v4, vcc
	s_branch .LBB17_8
.LBB17_11:
	s_endpgm
	.section	.rodata,"a",@progbits
	.p2align	6, 0x0
	.amdhsa_kernel _ZN9rocsparseL13ellmvt_kernelILj1024EiaaiiEEv20rocsparse_operation_T0_S2_S2_NS_24const_host_device_scalarIT4_EEPKS2_PKT1_PKT2_PT3_21rocsparse_index_base_b
		.amdhsa_group_segment_fixed_size 0
		.amdhsa_private_segment_fixed_size 0
		.amdhsa_kernarg_size 64
		.amdhsa_user_sgpr_count 6
		.amdhsa_user_sgpr_private_segment_buffer 1
		.amdhsa_user_sgpr_dispatch_ptr 0
		.amdhsa_user_sgpr_queue_ptr 0
		.amdhsa_user_sgpr_kernarg_segment_ptr 1
		.amdhsa_user_sgpr_dispatch_id 0
		.amdhsa_user_sgpr_flat_scratch_init 0
		.amdhsa_user_sgpr_kernarg_preload_length 0
		.amdhsa_user_sgpr_kernarg_preload_offset 0
		.amdhsa_user_sgpr_private_segment_size 0
		.amdhsa_uses_dynamic_stack 0
		.amdhsa_system_sgpr_private_segment_wavefront_offset 0
		.amdhsa_system_sgpr_workgroup_id_x 1
		.amdhsa_system_sgpr_workgroup_id_y 0
		.amdhsa_system_sgpr_workgroup_id_z 0
		.amdhsa_system_sgpr_workgroup_info 0
		.amdhsa_system_vgpr_workitem_id 0
		.amdhsa_next_free_vgpr 10
		.amdhsa_next_free_sgpr 20
		.amdhsa_accum_offset 12
		.amdhsa_reserve_vcc 1
		.amdhsa_reserve_flat_scratch 0
		.amdhsa_float_round_mode_32 0
		.amdhsa_float_round_mode_16_64 0
		.amdhsa_float_denorm_mode_32 3
		.amdhsa_float_denorm_mode_16_64 3
		.amdhsa_dx10_clamp 1
		.amdhsa_ieee_mode 1
		.amdhsa_fp16_overflow 0
		.amdhsa_tg_split 0
		.amdhsa_exception_fp_ieee_invalid_op 0
		.amdhsa_exception_fp_denorm_src 0
		.amdhsa_exception_fp_ieee_div_zero 0
		.amdhsa_exception_fp_ieee_overflow 0
		.amdhsa_exception_fp_ieee_underflow 0
		.amdhsa_exception_fp_ieee_inexact 0
		.amdhsa_exception_int_div_zero 0
	.end_amdhsa_kernel
	.section	.text._ZN9rocsparseL13ellmvt_kernelILj1024EiaaiiEEv20rocsparse_operation_T0_S2_S2_NS_24const_host_device_scalarIT4_EEPKS2_PKT1_PKT2_PT3_21rocsparse_index_base_b,"axG",@progbits,_ZN9rocsparseL13ellmvt_kernelILj1024EiaaiiEEv20rocsparse_operation_T0_S2_S2_NS_24const_host_device_scalarIT4_EEPKS2_PKT1_PKT2_PT3_21rocsparse_index_base_b,comdat
.Lfunc_end17:
	.size	_ZN9rocsparseL13ellmvt_kernelILj1024EiaaiiEEv20rocsparse_operation_T0_S2_S2_NS_24const_host_device_scalarIT4_EEPKS2_PKT1_PKT2_PT3_21rocsparse_index_base_b, .Lfunc_end17-_ZN9rocsparseL13ellmvt_kernelILj1024EiaaiiEEv20rocsparse_operation_T0_S2_S2_NS_24const_host_device_scalarIT4_EEPKS2_PKT1_PKT2_PT3_21rocsparse_index_base_b
                                        ; -- End function
	.section	.AMDGPU.csdata,"",@progbits
; Kernel info:
; codeLenInByte = 376
; NumSgprs: 24
; NumVgprs: 10
; NumAgprs: 0
; TotalNumVgprs: 10
; ScratchSize: 0
; MemoryBound: 0
; FloatMode: 240
; IeeeMode: 1
; LDSByteSize: 0 bytes/workgroup (compile time only)
; SGPRBlocks: 2
; VGPRBlocks: 1
; NumSGPRsForWavesPerEU: 24
; NumVGPRsForWavesPerEU: 10
; AccumOffset: 12
; Occupancy: 8
; WaveLimiterHint : 1
; COMPUTE_PGM_RSRC2:SCRATCH_EN: 0
; COMPUTE_PGM_RSRC2:USER_SGPR: 6
; COMPUTE_PGM_RSRC2:TRAP_HANDLER: 0
; COMPUTE_PGM_RSRC2:TGID_X_EN: 1
; COMPUTE_PGM_RSRC2:TGID_Y_EN: 0
; COMPUTE_PGM_RSRC2:TGID_Z_EN: 0
; COMPUTE_PGM_RSRC2:TIDIG_COMP_CNT: 0
; COMPUTE_PGM_RSRC3_GFX90A:ACCUM_OFFSET: 2
; COMPUTE_PGM_RSRC3_GFX90A:TG_SPLIT: 0
	.section	.text._ZN9rocsparseL13ellmvn_kernelILj512ElaaiiEEvT0_S1_S1_NS_24const_host_device_scalarIT4_EEPKS1_PKT1_PKT2_S4_PT3_21rocsparse_index_base_b,"axG",@progbits,_ZN9rocsparseL13ellmvn_kernelILj512ElaaiiEEvT0_S1_S1_NS_24const_host_device_scalarIT4_EEPKS1_PKT1_PKT2_S4_PT3_21rocsparse_index_base_b,comdat
	.globl	_ZN9rocsparseL13ellmvn_kernelILj512ElaaiiEEvT0_S1_S1_NS_24const_host_device_scalarIT4_EEPKS1_PKT1_PKT2_S4_PT3_21rocsparse_index_base_b ; -- Begin function _ZN9rocsparseL13ellmvn_kernelILj512ElaaiiEEvT0_S1_S1_NS_24const_host_device_scalarIT4_EEPKS1_PKT1_PKT2_S4_PT3_21rocsparse_index_base_b
	.p2align	8
	.type	_ZN9rocsparseL13ellmvn_kernelILj512ElaaiiEEvT0_S1_S1_NS_24const_host_device_scalarIT4_EEPKS1_PKT1_PKT2_S4_PT3_21rocsparse_index_base_b,@function
_ZN9rocsparseL13ellmvn_kernelILj512ElaaiiEEvT0_S1_S1_NS_24const_host_device_scalarIT4_EEPKS1_PKT1_PKT2_S4_PT3_21rocsparse_index_base_b: ; @_ZN9rocsparseL13ellmvn_kernelILj512ElaaiiEEvT0_S1_S1_NS_24const_host_device_scalarIT4_EEPKS1_PKT1_PKT2_S4_PT3_21rocsparse_index_base_b
; %bb.0:
	s_load_dwordx2 s[2:3], s[4:5], 0x48
	s_load_dwordx8 s[8:15], s[4:5], 0x0
	s_mov_b64 s[18:19], -1
	s_waitcnt lgkmcnt(0)
	s_bitcmp1_b32 s3, 0
	s_cselect_b64 s[0:1], -1, 0
	s_xor_b64 s[16:17], s[0:1], -1
	s_and_b64 vcc, exec, s[16:17]
                                        ; implicit-def: $sgpr3
	s_cbranch_vccnz .LBB18_4
; %bb.1:
	s_load_dwordx2 s[0:1], s[4:5], 0x38
	s_andn2_b64 vcc, exec, s[18:19]
	s_cbranch_vccz .LBB18_5
.LBB18_2:
	s_and_b64 vcc, exec, s[16:17]
	s_cbranch_vccz .LBB18_6
.LBB18_3:
	s_waitcnt lgkmcnt(0)
	s_load_dword s20, s[0:1], 0x0
	s_cbranch_execz .LBB18_7
	s_branch .LBB18_8
.LBB18_4:
	s_load_dword s3, s[14:15], 0x0
	s_load_dwordx2 s[0:1], s[4:5], 0x38
	s_cbranch_execnz .LBB18_2
.LBB18_5:
	s_waitcnt lgkmcnt(0)
	s_mov_b32 s3, s14
	s_and_b64 vcc, exec, s[16:17]
	s_cbranch_vccnz .LBB18_3
.LBB18_6:
                                        ; implicit-def: $sgpr20
.LBB18_7:
	s_waitcnt lgkmcnt(0)
	s_mov_b32 s20, s0
.LBB18_8:
	s_waitcnt lgkmcnt(0)
	s_cmp_lg_u32 s3, 0
	s_cselect_b64 s[0:1], -1, 0
	s_cmp_lg_u32 s20, 1
	s_cselect_b64 s[14:15], -1, 0
	s_or_b64 s[0:1], s[0:1], s[14:15]
	s_andn2_b64 vcc, exec, s[0:1]
	s_cbranch_vccnz .LBB18_19
; %bb.9:
	v_lshl_or_b32 v0, s6, 9, v0
	v_mov_b32_e32 v1, 0
	v_cmp_gt_i64_e32 vcc, s[8:9], v[0:1]
	s_and_saveexec_b64 s[0:1], vcc
	s_cbranch_execz .LBB18_19
; %bb.10:
	s_load_dwordx2 s[6:7], s[4:5], 0x40
	v_cmp_lt_i64_e64 s[0:1], s[12:13], 1
	s_and_b64 vcc, exec, s[0:1]
	v_mov_b32_e32 v8, v1
	s_cbranch_vccnz .LBB18_16
; %bb.11:
	s_load_dwordx4 s[16:19], s[4:5], 0x20
	s_load_dwordx2 s[14:15], s[4:5], 0x30
	v_lshlrev_b64 v[2:3], 3, v[0:1]
	s_add_u32 s4, s12, -1
	s_mov_b32 s0, 0
	s_waitcnt lgkmcnt(0)
	v_mov_b32_e32 v4, s17
	v_add_co_u32_e32 v2, vcc, s16, v2
	v_addc_co_u32_e32 v3, vcc, v4, v3, vcc
	s_addc_u32 s5, s13, -1
	s_lshl_b64 s[12:13], s[8:9], 3
	v_mov_b32_e32 v5, s19
	v_add_co_u32_e32 v4, vcc, s18, v0
	v_addc_co_u32_e32 v5, vcc, 0, v5, vcc
	s_mov_b64 s[16:17], 0
	v_mov_b32_e32 v8, 0
	v_mov_b32_e32 v9, s0
	v_mov_b32_e32 v10, s13
	v_mov_b32_e32 v11, s9
	s_branch .LBB18_13
.LBB18_12:                              ;   in Loop: Header=BB18_13 Depth=1
	s_or_b64 exec, exec, s[18:19]
	s_cmp_eq_u64 s[4:5], 0
	s_cselect_b64 s[18:19], -1, 0
	s_or_b64 s[0:1], s[0:1], s[18:19]
	s_add_u32 s4, s4, -1
	v_add_co_u32_e32 v2, vcc, s12, v2
	s_addc_u32 s5, s5, -1
	v_addc_co_u32_e32 v3, vcc, v3, v10, vcc
	s_and_b64 s[0:1], exec, s[0:1]
	v_add_co_u32_e32 v4, vcc, s8, v4
	s_or_b64 s[16:17], s[0:1], s[16:17]
	v_addc_co_u32_e32 v5, vcc, v5, v11, vcc
	s_andn2_b64 exec, exec, s[16:17]
	s_cbranch_execz .LBB18_15
.LBB18_13:                              ; =>This Inner Loop Header: Depth=1
	global_load_dwordx2 v[6:7], v[2:3], off glc slc
	s_waitcnt vmcnt(0)
	v_subrev_co_u32_e32 v6, vcc, s2, v6
	v_subb_co_u32_e32 v7, vcc, v7, v9, vcc
	v_cmp_gt_i64_e32 vcc, 0, v[6:7]
	v_cmp_le_i64_e64 s[0:1], s[10:11], v[6:7]
	s_or_b64 s[0:1], vcc, s[0:1]
	s_xor_b64 s[22:23], s[0:1], -1
	s_and_saveexec_b64 s[18:19], s[22:23]
	s_cbranch_execz .LBB18_12
; %bb.14:                               ;   in Loop: Header=BB18_13 Depth=1
	v_mov_b32_e32 v13, s15
	v_add_co_u32_e32 v6, vcc, s14, v6
	v_addc_co_u32_e32 v7, vcc, v13, v7, vcc
	global_load_sbyte v12, v[4:5], off glc slc
	s_nop 0
	global_load_sbyte v6, v[6:7], off
	s_waitcnt vmcnt(0)
	v_mad_i32_i24 v8, v6, v12, v8
	s_branch .LBB18_12
.LBB18_15:
	s_or_b64 exec, exec, s[16:17]
.LBB18_16:
	s_cmp_eq_u32 s20, 0
	v_mul_lo_u32 v2, v8, s3
	v_lshlrev_b64 v[0:1], 2, v[0:1]
	s_cbranch_scc1 .LBB18_20
; %bb.17:
	s_waitcnt lgkmcnt(0)
	v_mov_b32_e32 v3, s7
	v_add_co_u32_e32 v4, vcc, s6, v0
	v_addc_co_u32_e32 v5, vcc, v3, v1, vcc
	global_load_dword v3, v[4:5], off glc slc
	s_waitcnt vmcnt(0)
	v_mad_u64_u32 v[6:7], s[0:1], v3, s20, v[2:3]
	global_store_dword v[4:5], v6, off glc slc
	s_cbranch_execnz .LBB18_19
.LBB18_18:
	s_waitcnt lgkmcnt(0)
	v_mov_b32_e32 v3, s7
	v_add_co_u32_e32 v0, vcc, s6, v0
	v_addc_co_u32_e32 v1, vcc, v3, v1, vcc
	global_store_dword v[0:1], v2, off glc slc
.LBB18_19:
	s_endpgm
.LBB18_20:
	s_branch .LBB18_18
	.section	.rodata,"a",@progbits
	.p2align	6, 0x0
	.amdhsa_kernel _ZN9rocsparseL13ellmvn_kernelILj512ElaaiiEEvT0_S1_S1_NS_24const_host_device_scalarIT4_EEPKS1_PKT1_PKT2_S4_PT3_21rocsparse_index_base_b
		.amdhsa_group_segment_fixed_size 0
		.amdhsa_private_segment_fixed_size 0
		.amdhsa_kernarg_size 80
		.amdhsa_user_sgpr_count 6
		.amdhsa_user_sgpr_private_segment_buffer 1
		.amdhsa_user_sgpr_dispatch_ptr 0
		.amdhsa_user_sgpr_queue_ptr 0
		.amdhsa_user_sgpr_kernarg_segment_ptr 1
		.amdhsa_user_sgpr_dispatch_id 0
		.amdhsa_user_sgpr_flat_scratch_init 0
		.amdhsa_user_sgpr_kernarg_preload_length 0
		.amdhsa_user_sgpr_kernarg_preload_offset 0
		.amdhsa_user_sgpr_private_segment_size 0
		.amdhsa_uses_dynamic_stack 0
		.amdhsa_system_sgpr_private_segment_wavefront_offset 0
		.amdhsa_system_sgpr_workgroup_id_x 1
		.amdhsa_system_sgpr_workgroup_id_y 0
		.amdhsa_system_sgpr_workgroup_id_z 0
		.amdhsa_system_sgpr_workgroup_info 0
		.amdhsa_system_vgpr_workitem_id 0
		.amdhsa_next_free_vgpr 14
		.amdhsa_next_free_sgpr 24
		.amdhsa_accum_offset 16
		.amdhsa_reserve_vcc 1
		.amdhsa_reserve_flat_scratch 0
		.amdhsa_float_round_mode_32 0
		.amdhsa_float_round_mode_16_64 0
		.amdhsa_float_denorm_mode_32 3
		.amdhsa_float_denorm_mode_16_64 3
		.amdhsa_dx10_clamp 1
		.amdhsa_ieee_mode 1
		.amdhsa_fp16_overflow 0
		.amdhsa_tg_split 0
		.amdhsa_exception_fp_ieee_invalid_op 0
		.amdhsa_exception_fp_denorm_src 0
		.amdhsa_exception_fp_ieee_div_zero 0
		.amdhsa_exception_fp_ieee_overflow 0
		.amdhsa_exception_fp_ieee_underflow 0
		.amdhsa_exception_fp_ieee_inexact 0
		.amdhsa_exception_int_div_zero 0
	.end_amdhsa_kernel
	.section	.text._ZN9rocsparseL13ellmvn_kernelILj512ElaaiiEEvT0_S1_S1_NS_24const_host_device_scalarIT4_EEPKS1_PKT1_PKT2_S4_PT3_21rocsparse_index_base_b,"axG",@progbits,_ZN9rocsparseL13ellmvn_kernelILj512ElaaiiEEvT0_S1_S1_NS_24const_host_device_scalarIT4_EEPKS1_PKT1_PKT2_S4_PT3_21rocsparse_index_base_b,comdat
.Lfunc_end18:
	.size	_ZN9rocsparseL13ellmvn_kernelILj512ElaaiiEEvT0_S1_S1_NS_24const_host_device_scalarIT4_EEPKS1_PKT1_PKT2_S4_PT3_21rocsparse_index_base_b, .Lfunc_end18-_ZN9rocsparseL13ellmvn_kernelILj512ElaaiiEEvT0_S1_S1_NS_24const_host_device_scalarIT4_EEPKS1_PKT1_PKT2_S4_PT3_21rocsparse_index_base_b
                                        ; -- End function
	.section	.AMDGPU.csdata,"",@progbits
; Kernel info:
; codeLenInByte = 568
; NumSgprs: 28
; NumVgprs: 14
; NumAgprs: 0
; TotalNumVgprs: 14
; ScratchSize: 0
; MemoryBound: 0
; FloatMode: 240
; IeeeMode: 1
; LDSByteSize: 0 bytes/workgroup (compile time only)
; SGPRBlocks: 3
; VGPRBlocks: 1
; NumSGPRsForWavesPerEU: 28
; NumVGPRsForWavesPerEU: 14
; AccumOffset: 16
; Occupancy: 8
; WaveLimiterHint : 1
; COMPUTE_PGM_RSRC2:SCRATCH_EN: 0
; COMPUTE_PGM_RSRC2:USER_SGPR: 6
; COMPUTE_PGM_RSRC2:TRAP_HANDLER: 0
; COMPUTE_PGM_RSRC2:TGID_X_EN: 1
; COMPUTE_PGM_RSRC2:TGID_Y_EN: 0
; COMPUTE_PGM_RSRC2:TGID_Z_EN: 0
; COMPUTE_PGM_RSRC2:TIDIG_COMP_CNT: 0
; COMPUTE_PGM_RSRC3_GFX90A:ACCUM_OFFSET: 3
; COMPUTE_PGM_RSRC3_GFX90A:TG_SPLIT: 0
	.section	.text._ZN9rocsparseL13ellmvt_kernelILj1024ElaaiiEEv20rocsparse_operation_T0_S2_S2_NS_24const_host_device_scalarIT4_EEPKS2_PKT1_PKT2_PT3_21rocsparse_index_base_b,"axG",@progbits,_ZN9rocsparseL13ellmvt_kernelILj1024ElaaiiEEv20rocsparse_operation_T0_S2_S2_NS_24const_host_device_scalarIT4_EEPKS2_PKT1_PKT2_PT3_21rocsparse_index_base_b,comdat
	.globl	_ZN9rocsparseL13ellmvt_kernelILj1024ElaaiiEEv20rocsparse_operation_T0_S2_S2_NS_24const_host_device_scalarIT4_EEPKS2_PKT1_PKT2_PT3_21rocsparse_index_base_b ; -- Begin function _ZN9rocsparseL13ellmvt_kernelILj1024ElaaiiEEv20rocsparse_operation_T0_S2_S2_NS_24const_host_device_scalarIT4_EEPKS2_PKT1_PKT2_PT3_21rocsparse_index_base_b
	.p2align	8
	.type	_ZN9rocsparseL13ellmvt_kernelILj1024ElaaiiEEv20rocsparse_operation_T0_S2_S2_NS_24const_host_device_scalarIT4_EEPKS2_PKT1_PKT2_PT3_21rocsparse_index_base_b,@function
_ZN9rocsparseL13ellmvt_kernelILj1024ElaaiiEEv20rocsparse_operation_T0_S2_S2_NS_24const_host_device_scalarIT4_EEPKS2_PKT1_PKT2_PT3_21rocsparse_index_base_b: ; @_ZN9rocsparseL13ellmvt_kernelILj1024ElaaiiEEv20rocsparse_operation_T0_S2_S2_NS_24const_host_device_scalarIT4_EEPKS2_PKT1_PKT2_PT3_21rocsparse_index_base_b
; %bb.0:
	s_load_dwordx2 s[16:17], s[4:5], 0x48
	s_load_dwordx8 s[8:15], s[4:5], 0x8
	s_waitcnt lgkmcnt(0)
	s_bitcmp0_b32 s17, 0
	s_cbranch_scc0 .LBB19_2
; %bb.1:
	s_load_dword s17, s[14:15], 0x0
	s_cbranch_execz .LBB19_3
	s_branch .LBB19_4
.LBB19_2:
                                        ; implicit-def: $sgpr17
.LBB19_3:
	s_waitcnt lgkmcnt(0)
	s_mov_b32 s17, s14
.LBB19_4:
	s_waitcnt lgkmcnt(0)
	s_cmp_eq_u32 s17, 0
	s_cbranch_scc1 .LBB19_11
; %bb.5:
	v_lshl_or_b32 v2, s6, 10, v0
	v_mov_b32_e32 v3, 0
	v_cmp_gt_i64_e32 vcc, s[8:9], v[2:3]
	s_and_saveexec_b64 s[0:1], vcc
	s_cbranch_execz .LBB19_11
; %bb.6:
	v_cmp_lt_i64_e64 s[0:1], s[12:13], 1
	s_and_b64 vcc, exec, s[0:1]
	s_cbranch_vccnz .LBB19_11
; %bb.7:
	s_load_dwordx8 s[0:7], s[4:5], 0x28
	s_mov_b32 s18, 0
	s_mov_b64 s[14:15], 0
	v_mov_b32_e32 v7, s18
	s_waitcnt lgkmcnt(0)
	v_mov_b32_e32 v1, s5
	v_add_co_u32_e32 v0, vcc, s4, v2
	v_addc_co_u32_e32 v1, vcc, 0, v1, vcc
	global_load_sbyte v4, v[0:1], off
	v_lshlrev_b64 v[0:1], 3, v[2:3]
	v_mov_b32_e32 v3, s1
	v_add_co_u32_e32 v0, vcc, s0, v0
	v_addc_co_u32_e32 v1, vcc, v3, v1, vcc
	v_mov_b32_e32 v5, s3
	v_add_co_u32_e32 v2, vcc, s2, v2
	s_lshl_b64 s[4:5], s[8:9], 3
	v_addc_co_u32_e32 v3, vcc, 0, v5, vcc
                                        ; implicit-def: $sgpr2_sgpr3
	s_waitcnt vmcnt(0)
	v_mul_lo_u32 v6, s17, v4
	s_branch .LBB19_9
.LBB19_8:                               ;   in Loop: Header=BB19_9 Depth=1
	s_or_b64 exec, exec, s[0:1]
	s_and_b64 s[0:1], exec, s[2:3]
	s_or_b64 s[14:15], s[0:1], s[14:15]
	s_andn2_b64 exec, exec, s[14:15]
	s_cbranch_execz .LBB19_11
.LBB19_9:                               ; =>This Inner Loop Header: Depth=1
	global_load_dwordx2 v[4:5], v[0:1], off glc slc
	s_or_b64 s[2:3], s[2:3], exec
	s_waitcnt vmcnt(0)
	v_subrev_co_u32_e32 v4, vcc, s16, v4
	v_subb_co_u32_e32 v5, vcc, v5, v7, vcc
	v_cmp_lt_i64_e32 vcc, -1, v[4:5]
	v_cmp_gt_i64_e64 s[0:1], s[10:11], v[4:5]
	s_and_b64 s[18:19], vcc, s[0:1]
	s_and_saveexec_b64 s[0:1], s[18:19]
	s_cbranch_execz .LBB19_8
; %bb.10:                               ;   in Loop: Header=BB19_9 Depth=1
	global_load_sbyte v8, v[2:3], off glc slc
	v_lshlrev_b64 v[4:5], 2, v[4:5]
	v_mov_b32_e32 v9, s7
	v_add_co_u32_e32 v4, vcc, s6, v4
	v_addc_co_u32_e32 v5, vcc, v9, v5, vcc
	s_add_u32 s12, s12, -1
	s_addc_u32 s13, s13, -1
	v_add_co_u32_e32 v0, vcc, s4, v0
	s_cmp_eq_u64 s[12:13], 0
	s_cselect_b64 s[18:19], -1, 0
	s_andn2_b64 s[2:3], s[2:3], exec
	s_and_b64 s[18:19], s[18:19], exec
	s_or_b64 s[2:3], s[2:3], s[18:19]
	s_waitcnt vmcnt(0)
	v_mul_lo_u32 v8, v6, v8
	global_atomic_add v[4:5], v8, off
	v_mov_b32_e32 v4, s5
	v_addc_co_u32_e32 v1, vcc, v1, v4, vcc
	v_mov_b32_e32 v4, s9
	v_add_co_u32_e32 v2, vcc, s8, v2
	v_addc_co_u32_e32 v3, vcc, v3, v4, vcc
	s_branch .LBB19_8
.LBB19_11:
	s_endpgm
	.section	.rodata,"a",@progbits
	.p2align	6, 0x0
	.amdhsa_kernel _ZN9rocsparseL13ellmvt_kernelILj1024ElaaiiEEv20rocsparse_operation_T0_S2_S2_NS_24const_host_device_scalarIT4_EEPKS2_PKT1_PKT2_PT3_21rocsparse_index_base_b
		.amdhsa_group_segment_fixed_size 0
		.amdhsa_private_segment_fixed_size 0
		.amdhsa_kernarg_size 80
		.amdhsa_user_sgpr_count 6
		.amdhsa_user_sgpr_private_segment_buffer 1
		.amdhsa_user_sgpr_dispatch_ptr 0
		.amdhsa_user_sgpr_queue_ptr 0
		.amdhsa_user_sgpr_kernarg_segment_ptr 1
		.amdhsa_user_sgpr_dispatch_id 0
		.amdhsa_user_sgpr_flat_scratch_init 0
		.amdhsa_user_sgpr_kernarg_preload_length 0
		.amdhsa_user_sgpr_kernarg_preload_offset 0
		.amdhsa_user_sgpr_private_segment_size 0
		.amdhsa_uses_dynamic_stack 0
		.amdhsa_system_sgpr_private_segment_wavefront_offset 0
		.amdhsa_system_sgpr_workgroup_id_x 1
		.amdhsa_system_sgpr_workgroup_id_y 0
		.amdhsa_system_sgpr_workgroup_id_z 0
		.amdhsa_system_sgpr_workgroup_info 0
		.amdhsa_system_vgpr_workitem_id 0
		.amdhsa_next_free_vgpr 10
		.amdhsa_next_free_sgpr 20
		.amdhsa_accum_offset 12
		.amdhsa_reserve_vcc 1
		.amdhsa_reserve_flat_scratch 0
		.amdhsa_float_round_mode_32 0
		.amdhsa_float_round_mode_16_64 0
		.amdhsa_float_denorm_mode_32 3
		.amdhsa_float_denorm_mode_16_64 3
		.amdhsa_dx10_clamp 1
		.amdhsa_ieee_mode 1
		.amdhsa_fp16_overflow 0
		.amdhsa_tg_split 0
		.amdhsa_exception_fp_ieee_invalid_op 0
		.amdhsa_exception_fp_denorm_src 0
		.amdhsa_exception_fp_ieee_div_zero 0
		.amdhsa_exception_fp_ieee_overflow 0
		.amdhsa_exception_fp_ieee_underflow 0
		.amdhsa_exception_fp_ieee_inexact 0
		.amdhsa_exception_int_div_zero 0
	.end_amdhsa_kernel
	.section	.text._ZN9rocsparseL13ellmvt_kernelILj1024ElaaiiEEv20rocsparse_operation_T0_S2_S2_NS_24const_host_device_scalarIT4_EEPKS2_PKT1_PKT2_PT3_21rocsparse_index_base_b,"axG",@progbits,_ZN9rocsparseL13ellmvt_kernelILj1024ElaaiiEEv20rocsparse_operation_T0_S2_S2_NS_24const_host_device_scalarIT4_EEPKS2_PKT1_PKT2_PT3_21rocsparse_index_base_b,comdat
.Lfunc_end19:
	.size	_ZN9rocsparseL13ellmvt_kernelILj1024ElaaiiEEv20rocsparse_operation_T0_S2_S2_NS_24const_host_device_scalarIT4_EEPKS2_PKT1_PKT2_PT3_21rocsparse_index_base_b, .Lfunc_end19-_ZN9rocsparseL13ellmvt_kernelILj1024ElaaiiEEv20rocsparse_operation_T0_S2_S2_NS_24const_host_device_scalarIT4_EEPKS2_PKT1_PKT2_PT3_21rocsparse_index_base_b
                                        ; -- End function
	.section	.AMDGPU.csdata,"",@progbits
; Kernel info:
; codeLenInByte = 376
; NumSgprs: 24
; NumVgprs: 10
; NumAgprs: 0
; TotalNumVgprs: 10
; ScratchSize: 0
; MemoryBound: 0
; FloatMode: 240
; IeeeMode: 1
; LDSByteSize: 0 bytes/workgroup (compile time only)
; SGPRBlocks: 2
; VGPRBlocks: 1
; NumSGPRsForWavesPerEU: 24
; NumVGPRsForWavesPerEU: 10
; AccumOffset: 12
; Occupancy: 8
; WaveLimiterHint : 1
; COMPUTE_PGM_RSRC2:SCRATCH_EN: 0
; COMPUTE_PGM_RSRC2:USER_SGPR: 6
; COMPUTE_PGM_RSRC2:TRAP_HANDLER: 0
; COMPUTE_PGM_RSRC2:TGID_X_EN: 1
; COMPUTE_PGM_RSRC2:TGID_Y_EN: 0
; COMPUTE_PGM_RSRC2:TGID_Z_EN: 0
; COMPUTE_PGM_RSRC2:TIDIG_COMP_CNT: 0
; COMPUTE_PGM_RSRC3_GFX90A:ACCUM_OFFSET: 2
; COMPUTE_PGM_RSRC3_GFX90A:TG_SPLIT: 0
	.section	.text._ZN9rocsparseL13ellmvn_kernelILj512EiaaffEEvT0_S1_S1_NS_24const_host_device_scalarIT4_EEPKS1_PKT1_PKT2_S4_PT3_21rocsparse_index_base_b,"axG",@progbits,_ZN9rocsparseL13ellmvn_kernelILj512EiaaffEEvT0_S1_S1_NS_24const_host_device_scalarIT4_EEPKS1_PKT1_PKT2_S4_PT3_21rocsparse_index_base_b,comdat
	.globl	_ZN9rocsparseL13ellmvn_kernelILj512EiaaffEEvT0_S1_S1_NS_24const_host_device_scalarIT4_EEPKS1_PKT1_PKT2_S4_PT3_21rocsparse_index_base_b ; -- Begin function _ZN9rocsparseL13ellmvn_kernelILj512EiaaffEEvT0_S1_S1_NS_24const_host_device_scalarIT4_EEPKS1_PKT1_PKT2_S4_PT3_21rocsparse_index_base_b
	.p2align	8
	.type	_ZN9rocsparseL13ellmvn_kernelILj512EiaaffEEvT0_S1_S1_NS_24const_host_device_scalarIT4_EEPKS1_PKT1_PKT2_S4_PT3_21rocsparse_index_base_b,@function
_ZN9rocsparseL13ellmvn_kernelILj512EiaaffEEvT0_S1_S1_NS_24const_host_device_scalarIT4_EEPKS1_PKT1_PKT2_S4_PT3_21rocsparse_index_base_b: ; @_ZN9rocsparseL13ellmvn_kernelILj512EiaaffEEvT0_S1_S1_NS_24const_host_device_scalarIT4_EEPKS1_PKT1_PKT2_S4_PT3_21rocsparse_index_base_b
; %bb.0:
	s_load_dwordx2 s[14:15], s[4:5], 0x40
	s_load_dwordx2 s[12:13], s[4:5], 0x10
	;; [unrolled: 1-line block ×3, first 2 shown]
	s_waitcnt lgkmcnt(0)
	s_bitcmp1_b32 s15, 0
	s_cselect_b64 s[8:9], -1, 0
	s_xor_b64 s[0:1], s[8:9], -1
	s_and_b64 vcc, exec, s[8:9]
	s_cbranch_vccnz .LBB20_2
; %bb.1:
	s_load_dword s12, s[12:13], 0x0
.LBB20_2:
	s_andn2_b64 vcc, exec, s[0:1]
	s_cbranch_vccnz .LBB20_4
; %bb.3:
	s_load_dword s2, s[2:3], 0x0
.LBB20_4:
	s_waitcnt lgkmcnt(0)
	v_cmp_neq_f32_e64 s[0:1], s12, 0
	v_cmp_neq_f32_e64 s[8:9], s2, 1.0
	s_or_b64 s[0:1], s[0:1], s[8:9]
	s_andn2_b64 vcc, exec, s[0:1]
	s_cbranch_vccnz .LBB20_14
; %bb.5:
	s_load_dwordx4 s[8:11], s[4:5], 0x0
	v_lshl_or_b32 v0, s6, 9, v0
	s_waitcnt lgkmcnt(0)
	v_cmp_gt_i32_e32 vcc, s8, v0
	s_and_saveexec_b64 s[0:1], vcc
	s_cbranch_execz .LBB20_14
; %bb.6:
	s_load_dwordx2 s[6:7], s[4:5], 0x38
	s_cmp_lt_i32 s10, 1
	v_ashrrev_i32_e32 v1, 31, v0
	s_cbranch_scc1 .LBB20_15
; %bb.7:
	s_load_dwordx4 s[20:23], s[4:5], 0x18
	s_load_dwordx2 s[16:17], s[4:5], 0x28
	v_lshlrev_b64 v[2:3], 2, v[0:1]
	s_ashr_i32 s5, s8, 31
	s_mov_b32 s4, s8
	s_waitcnt lgkmcnt(0)
	v_mov_b32_e32 v4, s21
	v_add_co_u32_e32 v2, vcc, s20, v2
	v_addc_co_u32_e32 v3, vcc, v4, v3, vcc
	s_add_i32 s3, s10, -1
	s_lshl_b64 s[10:11], s[4:5], 2
	v_mov_b32_e32 v5, s23
	v_add_co_u32_e32 v4, vcc, s22, v0
	v_addc_co_u32_e32 v5, vcc, v5, v1, vcc
	s_mov_b64 s[18:19], 0
	v_mov_b32_e32 v6, 0
	v_mov_b32_e32 v7, s11
	;; [unrolled: 1-line block ×3, first 2 shown]
	s_branch .LBB20_9
.LBB20_8:                               ;   in Loop: Header=BB20_9 Depth=1
	s_or_b64 exec, exec, s[20:21]
	s_cmp_eq_u32 s3, 0
	s_cselect_b64 s[20:21], -1, 0
	v_add_co_u32_e32 v2, vcc, s10, v2
	s_or_b64 s[0:1], s[0:1], s[20:21]
	s_add_i32 s3, s3, -1
	v_addc_co_u32_e32 v3, vcc, v3, v7, vcc
	s_and_b64 s[0:1], exec, s[0:1]
	v_add_co_u32_e32 v4, vcc, s4, v4
	s_or_b64 s[18:19], s[0:1], s[18:19]
	v_addc_co_u32_e32 v5, vcc, v5, v8, vcc
	s_andn2_b64 exec, exec, s[18:19]
	s_cbranch_execz .LBB20_11
.LBB20_9:                               ; =>This Inner Loop Header: Depth=1
	global_load_dword v9, v[2:3], off glc slc
	s_waitcnt vmcnt(0)
	v_subrev_u32_e32 v9, s14, v9
	v_cmp_gt_i32_e32 vcc, 0, v9
	v_cmp_le_i32_e64 s[0:1], s9, v9
	s_or_b64 s[0:1], vcc, s[0:1]
	s_xor_b64 s[22:23], s[0:1], -1
	s_and_saveexec_b64 s[20:21], s[22:23]
	s_cbranch_execz .LBB20_8
; %bb.10:                               ;   in Loop: Header=BB20_9 Depth=1
	global_load_sbyte v10, v[4:5], off glc slc
	global_load_sbyte v11, v9, s[16:17]
	s_waitcnt vmcnt(1)
	v_cvt_f32_i32_e32 v9, v10
	s_waitcnt vmcnt(0)
	v_cvt_f32_i32_e32 v10, v11
	v_fmac_f32_e32 v6, v9, v10
	s_branch .LBB20_8
.LBB20_11:
	s_or_b64 exec, exec, s[18:19]
	v_cmp_eq_f32_e64 s[0:1], s2, 0
	s_and_b64 vcc, exec, s[0:1]
	v_mul_f32_e32 v2, s12, v6
	s_cbranch_vccz .LBB20_16
.LBB20_12:
	v_lshlrev_b64 v[4:5], 2, v[0:1]
	s_waitcnt lgkmcnt(0)
	v_mov_b32_e32 v3, s7
	v_add_co_u32_e32 v4, vcc, s6, v4
	v_addc_co_u32_e32 v5, vcc, v3, v5, vcc
	global_store_dword v[4:5], v2, off glc slc
	s_cbranch_execnz .LBB20_14
.LBB20_13:
	v_lshlrev_b64 v[0:1], 2, v[0:1]
	s_waitcnt lgkmcnt(0)
	v_mov_b32_e32 v3, s7
	v_add_co_u32_e32 v0, vcc, s6, v0
	v_addc_co_u32_e32 v1, vcc, v3, v1, vcc
	global_load_dword v3, v[0:1], off glc slc
	s_waitcnt vmcnt(0)
	v_fmac_f32_e32 v2, s2, v3
	global_store_dword v[0:1], v2, off glc slc
.LBB20_14:
	s_endpgm
.LBB20_15:
	v_mov_b32_e32 v6, 0
	v_cmp_eq_f32_e64 s[0:1], s2, 0
	s_and_b64 vcc, exec, s[0:1]
	v_mul_f32_e32 v2, s12, v6
	s_cbranch_vccnz .LBB20_12
.LBB20_16:
	s_branch .LBB20_13
	.section	.rodata,"a",@progbits
	.p2align	6, 0x0
	.amdhsa_kernel _ZN9rocsparseL13ellmvn_kernelILj512EiaaffEEvT0_S1_S1_NS_24const_host_device_scalarIT4_EEPKS1_PKT1_PKT2_S4_PT3_21rocsparse_index_base_b
		.amdhsa_group_segment_fixed_size 0
		.amdhsa_private_segment_fixed_size 0
		.amdhsa_kernarg_size 72
		.amdhsa_user_sgpr_count 6
		.amdhsa_user_sgpr_private_segment_buffer 1
		.amdhsa_user_sgpr_dispatch_ptr 0
		.amdhsa_user_sgpr_queue_ptr 0
		.amdhsa_user_sgpr_kernarg_segment_ptr 1
		.amdhsa_user_sgpr_dispatch_id 0
		.amdhsa_user_sgpr_flat_scratch_init 0
		.amdhsa_user_sgpr_kernarg_preload_length 0
		.amdhsa_user_sgpr_kernarg_preload_offset 0
		.amdhsa_user_sgpr_private_segment_size 0
		.amdhsa_uses_dynamic_stack 0
		.amdhsa_system_sgpr_private_segment_wavefront_offset 0
		.amdhsa_system_sgpr_workgroup_id_x 1
		.amdhsa_system_sgpr_workgroup_id_y 0
		.amdhsa_system_sgpr_workgroup_id_z 0
		.amdhsa_system_sgpr_workgroup_info 0
		.amdhsa_system_vgpr_workitem_id 0
		.amdhsa_next_free_vgpr 12
		.amdhsa_next_free_sgpr 24
		.amdhsa_accum_offset 12
		.amdhsa_reserve_vcc 1
		.amdhsa_reserve_flat_scratch 0
		.amdhsa_float_round_mode_32 0
		.amdhsa_float_round_mode_16_64 0
		.amdhsa_float_denorm_mode_32 3
		.amdhsa_float_denorm_mode_16_64 3
		.amdhsa_dx10_clamp 1
		.amdhsa_ieee_mode 1
		.amdhsa_fp16_overflow 0
		.amdhsa_tg_split 0
		.amdhsa_exception_fp_ieee_invalid_op 0
		.amdhsa_exception_fp_denorm_src 0
		.amdhsa_exception_fp_ieee_div_zero 0
		.amdhsa_exception_fp_ieee_overflow 0
		.amdhsa_exception_fp_ieee_underflow 0
		.amdhsa_exception_fp_ieee_inexact 0
		.amdhsa_exception_int_div_zero 0
	.end_amdhsa_kernel
	.section	.text._ZN9rocsparseL13ellmvn_kernelILj512EiaaffEEvT0_S1_S1_NS_24const_host_device_scalarIT4_EEPKS1_PKT1_PKT2_S4_PT3_21rocsparse_index_base_b,"axG",@progbits,_ZN9rocsparseL13ellmvn_kernelILj512EiaaffEEvT0_S1_S1_NS_24const_host_device_scalarIT4_EEPKS1_PKT1_PKT2_S4_PT3_21rocsparse_index_base_b,comdat
.Lfunc_end20:
	.size	_ZN9rocsparseL13ellmvn_kernelILj512EiaaffEEvT0_S1_S1_NS_24const_host_device_scalarIT4_EEPKS1_PKT1_PKT2_S4_PT3_21rocsparse_index_base_b, .Lfunc_end20-_ZN9rocsparseL13ellmvn_kernelILj512EiaaffEEvT0_S1_S1_NS_24const_host_device_scalarIT4_EEPKS1_PKT1_PKT2_S4_PT3_21rocsparse_index_base_b
                                        ; -- End function
	.section	.AMDGPU.csdata,"",@progbits
; Kernel info:
; codeLenInByte = 520
; NumSgprs: 28
; NumVgprs: 12
; NumAgprs: 0
; TotalNumVgprs: 12
; ScratchSize: 0
; MemoryBound: 0
; FloatMode: 240
; IeeeMode: 1
; LDSByteSize: 0 bytes/workgroup (compile time only)
; SGPRBlocks: 3
; VGPRBlocks: 1
; NumSGPRsForWavesPerEU: 28
; NumVGPRsForWavesPerEU: 12
; AccumOffset: 12
; Occupancy: 8
; WaveLimiterHint : 1
; COMPUTE_PGM_RSRC2:SCRATCH_EN: 0
; COMPUTE_PGM_RSRC2:USER_SGPR: 6
; COMPUTE_PGM_RSRC2:TRAP_HANDLER: 0
; COMPUTE_PGM_RSRC2:TGID_X_EN: 1
; COMPUTE_PGM_RSRC2:TGID_Y_EN: 0
; COMPUTE_PGM_RSRC2:TGID_Z_EN: 0
; COMPUTE_PGM_RSRC2:TIDIG_COMP_CNT: 0
; COMPUTE_PGM_RSRC3_GFX90A:ACCUM_OFFSET: 2
; COMPUTE_PGM_RSRC3_GFX90A:TG_SPLIT: 0
	.section	.text._ZN9rocsparseL13ellmvt_kernelILj1024EiaaffEEv20rocsparse_operation_T0_S2_S2_NS_24const_host_device_scalarIT4_EEPKS2_PKT1_PKT2_PT3_21rocsparse_index_base_b,"axG",@progbits,_ZN9rocsparseL13ellmvt_kernelILj1024EiaaffEEv20rocsparse_operation_T0_S2_S2_NS_24const_host_device_scalarIT4_EEPKS2_PKT1_PKT2_PT3_21rocsparse_index_base_b,comdat
	.globl	_ZN9rocsparseL13ellmvt_kernelILj1024EiaaffEEv20rocsparse_operation_T0_S2_S2_NS_24const_host_device_scalarIT4_EEPKS2_PKT1_PKT2_PT3_21rocsparse_index_base_b ; -- Begin function _ZN9rocsparseL13ellmvt_kernelILj1024EiaaffEEv20rocsparse_operation_T0_S2_S2_NS_24const_host_device_scalarIT4_EEPKS2_PKT1_PKT2_PT3_21rocsparse_index_base_b
	.p2align	8
	.type	_ZN9rocsparseL13ellmvt_kernelILj1024EiaaffEEv20rocsparse_operation_T0_S2_S2_NS_24const_host_device_scalarIT4_EEPKS2_PKT1_PKT2_PT3_21rocsparse_index_base_b,@function
_ZN9rocsparseL13ellmvt_kernelILj1024EiaaffEEv20rocsparse_operation_T0_S2_S2_NS_24const_host_device_scalarIT4_EEPKS2_PKT1_PKT2_PT3_21rocsparse_index_base_b: ; @_ZN9rocsparseL13ellmvt_kernelILj1024EiaaffEEv20rocsparse_operation_T0_S2_S2_NS_24const_host_device_scalarIT4_EEPKS2_PKT1_PKT2_PT3_21rocsparse_index_base_b
; %bb.0:
	s_load_dwordx2 s[2:3], s[4:5], 0x38
	s_load_dwordx2 s[0:1], s[4:5], 0x10
	s_waitcnt lgkmcnt(0)
	s_bitcmp1_b32 s3, 0
	s_cselect_b64 s[8:9], -1, 0
	s_and_b64 vcc, exec, s[8:9]
	s_cbranch_vccnz .LBB21_2
; %bb.1:
	s_load_dword s0, s[0:1], 0x0
.LBB21_2:
	s_waitcnt lgkmcnt(0)
	v_cmp_eq_f32_e64 s[8:9], s0, 0
	s_and_b64 vcc, exec, s[8:9]
	s_cbranch_vccnz .LBB21_11
; %bb.3:
	s_load_dwordx4 s[12:15], s[4:5], 0x4
	v_lshl_or_b32 v0, s6, 10, v0
	s_waitcnt lgkmcnt(0)
	v_cmp_gt_i32_e32 vcc, s12, v0
	s_and_saveexec_b64 s[6:7], vcc
	s_cbranch_execz .LBB21_11
; %bb.4:
	s_cmp_lt_i32 s14, 1
	s_cbranch_scc1 .LBB21_11
; %bb.5:
	s_load_dwordx8 s[4:11], s[4:5], 0x18
	v_ashrrev_i32_e32 v1, 31, v0
	s_mov_b32 s1, s12
	s_ashr_i32 s3, s12, 31
	s_mov_b32 s12, 0
	s_waitcnt lgkmcnt(0)
	v_mov_b32_e32 v3, s9
	v_add_co_u32_e32 v2, vcc, s8, v0
	v_addc_co_u32_e32 v3, vcc, v3, v1, vcc
	global_load_sbyte v2, v[2:3], off
	s_mov_b64 s[8:9], 0
	v_mov_b32_e32 v8, s1
	v_mov_b32_e32 v9, s5
	;; [unrolled: 1-line block ×3, first 2 shown]
                                        ; implicit-def: $sgpr16_sgpr17
	s_waitcnt vmcnt(0)
	v_cvt_f32_i32_e32 v2, v2
	v_mul_f32_e32 v10, s0, v2
	s_branch .LBB21_7
.LBB21_6:                               ;   in Loop: Header=BB21_7 Depth=1
	s_or_b64 exec, exec, s[0:1]
	s_and_b64 s[0:1], exec, s[16:17]
	s_or_b64 s[8:9], s[0:1], s[8:9]
	s_andn2_b64 exec, exec, s[8:9]
	s_cbranch_execz .LBB21_11
.LBB21_7:                               ; =>This Loop Header: Depth=1
                                        ;     Child Loop BB21_9 Depth 2
	v_mad_u64_u32 v[4:5], s[0:1], s12, v8, v[0:1]
	s_mul_i32 s0, s12, s3
	v_add_u32_e32 v5, s0, v5
	v_lshlrev_b64 v[6:7], 2, v[4:5]
	v_add_co_u32_e32 v6, vcc, s4, v6
	v_addc_co_u32_e32 v7, vcc, v9, v7, vcc
	global_load_dword v2, v[6:7], off glc slc
	s_or_b64 s[16:17], s[16:17], exec
	s_waitcnt vmcnt(0)
	v_subrev_u32_e32 v2, s2, v2
	v_cmp_lt_i32_e32 vcc, -1, v2
	v_cmp_gt_i32_e64 s[0:1], s13, v2
	s_and_b64 s[18:19], vcc, s[0:1]
	s_and_saveexec_b64 s[0:1], s[18:19]
	s_cbranch_execz .LBB21_6
; %bb.8:                                ;   in Loop: Header=BB21_7 Depth=1
	v_mov_b32_e32 v6, s7
	v_add_co_u32_e32 v4, vcc, s6, v4
	v_addc_co_u32_e32 v5, vcc, v6, v5, vcc
	global_load_sbyte v6, v[4:5], off glc slc
	v_lshlrev_b64 v[4:5], 2, v[2:3]
	v_mov_b32_e32 v2, s11
	v_add_co_u32_e32 v4, vcc, s10, v4
	v_addc_co_u32_e32 v5, vcc, v2, v5, vcc
	global_load_dword v7, v[4:5], off
	s_mov_b64 s[18:19], 0
	s_waitcnt vmcnt(1)
	v_cvt_f32_i32_e32 v2, v6
	v_mul_f32_e32 v2, v10, v2
.LBB21_9:                               ;   Parent Loop BB21_7 Depth=1
                                        ; =>  This Inner Loop Header: Depth=2
	s_waitcnt vmcnt(0)
	v_add_f32_e32 v6, v7, v2
	global_atomic_cmpswap v6, v[4:5], v[6:7], off glc
	s_waitcnt vmcnt(0)
	v_cmp_eq_u32_e32 vcc, v6, v7
	s_or_b64 s[18:19], vcc, s[18:19]
	v_mov_b32_e32 v7, v6
	s_andn2_b64 exec, exec, s[18:19]
	s_cbranch_execnz .LBB21_9
; %bb.10:                               ;   in Loop: Header=BB21_7 Depth=1
	s_or_b64 exec, exec, s[18:19]
	s_add_i32 s12, s12, 1
	s_cmp_eq_u32 s12, s14
	s_cselect_b64 s[18:19], -1, 0
	s_andn2_b64 s[16:17], s[16:17], exec
	s_and_b64 s[18:19], s[18:19], exec
	s_or_b64 s[16:17], s[16:17], s[18:19]
	s_branch .LBB21_6
.LBB21_11:
	s_endpgm
	.section	.rodata,"a",@progbits
	.p2align	6, 0x0
	.amdhsa_kernel _ZN9rocsparseL13ellmvt_kernelILj1024EiaaffEEv20rocsparse_operation_T0_S2_S2_NS_24const_host_device_scalarIT4_EEPKS2_PKT1_PKT2_PT3_21rocsparse_index_base_b
		.amdhsa_group_segment_fixed_size 0
		.amdhsa_private_segment_fixed_size 0
		.amdhsa_kernarg_size 64
		.amdhsa_user_sgpr_count 6
		.amdhsa_user_sgpr_private_segment_buffer 1
		.amdhsa_user_sgpr_dispatch_ptr 0
		.amdhsa_user_sgpr_queue_ptr 0
		.amdhsa_user_sgpr_kernarg_segment_ptr 1
		.amdhsa_user_sgpr_dispatch_id 0
		.amdhsa_user_sgpr_flat_scratch_init 0
		.amdhsa_user_sgpr_kernarg_preload_length 0
		.amdhsa_user_sgpr_kernarg_preload_offset 0
		.amdhsa_user_sgpr_private_segment_size 0
		.amdhsa_uses_dynamic_stack 0
		.amdhsa_system_sgpr_private_segment_wavefront_offset 0
		.amdhsa_system_sgpr_workgroup_id_x 1
		.amdhsa_system_sgpr_workgroup_id_y 0
		.amdhsa_system_sgpr_workgroup_id_z 0
		.amdhsa_system_sgpr_workgroup_info 0
		.amdhsa_system_vgpr_workitem_id 0
		.amdhsa_next_free_vgpr 11
		.amdhsa_next_free_sgpr 20
		.amdhsa_accum_offset 12
		.amdhsa_reserve_vcc 1
		.amdhsa_reserve_flat_scratch 0
		.amdhsa_float_round_mode_32 0
		.amdhsa_float_round_mode_16_64 0
		.amdhsa_float_denorm_mode_32 3
		.amdhsa_float_denorm_mode_16_64 3
		.amdhsa_dx10_clamp 1
		.amdhsa_ieee_mode 1
		.amdhsa_fp16_overflow 0
		.amdhsa_tg_split 0
		.amdhsa_exception_fp_ieee_invalid_op 0
		.amdhsa_exception_fp_denorm_src 0
		.amdhsa_exception_fp_ieee_div_zero 0
		.amdhsa_exception_fp_ieee_overflow 0
		.amdhsa_exception_fp_ieee_underflow 0
		.amdhsa_exception_fp_ieee_inexact 0
		.amdhsa_exception_int_div_zero 0
	.end_amdhsa_kernel
	.section	.text._ZN9rocsparseL13ellmvt_kernelILj1024EiaaffEEv20rocsparse_operation_T0_S2_S2_NS_24const_host_device_scalarIT4_EEPKS2_PKT1_PKT2_PT3_21rocsparse_index_base_b,"axG",@progbits,_ZN9rocsparseL13ellmvt_kernelILj1024EiaaffEEv20rocsparse_operation_T0_S2_S2_NS_24const_host_device_scalarIT4_EEPKS2_PKT1_PKT2_PT3_21rocsparse_index_base_b,comdat
.Lfunc_end21:
	.size	_ZN9rocsparseL13ellmvt_kernelILj1024EiaaffEEv20rocsparse_operation_T0_S2_S2_NS_24const_host_device_scalarIT4_EEPKS2_PKT1_PKT2_PT3_21rocsparse_index_base_b, .Lfunc_end21-_ZN9rocsparseL13ellmvt_kernelILj1024EiaaffEEv20rocsparse_operation_T0_S2_S2_NS_24const_host_device_scalarIT4_EEPKS2_PKT1_PKT2_PT3_21rocsparse_index_base_b
                                        ; -- End function
	.section	.AMDGPU.csdata,"",@progbits
; Kernel info:
; codeLenInByte = 420
; NumSgprs: 24
; NumVgprs: 11
; NumAgprs: 0
; TotalNumVgprs: 11
; ScratchSize: 0
; MemoryBound: 0
; FloatMode: 240
; IeeeMode: 1
; LDSByteSize: 0 bytes/workgroup (compile time only)
; SGPRBlocks: 2
; VGPRBlocks: 1
; NumSGPRsForWavesPerEU: 24
; NumVGPRsForWavesPerEU: 11
; AccumOffset: 12
; Occupancy: 8
; WaveLimiterHint : 1
; COMPUTE_PGM_RSRC2:SCRATCH_EN: 0
; COMPUTE_PGM_RSRC2:USER_SGPR: 6
; COMPUTE_PGM_RSRC2:TRAP_HANDLER: 0
; COMPUTE_PGM_RSRC2:TGID_X_EN: 1
; COMPUTE_PGM_RSRC2:TGID_Y_EN: 0
; COMPUTE_PGM_RSRC2:TGID_Z_EN: 0
; COMPUTE_PGM_RSRC2:TIDIG_COMP_CNT: 0
; COMPUTE_PGM_RSRC3_GFX90A:ACCUM_OFFSET: 2
; COMPUTE_PGM_RSRC3_GFX90A:TG_SPLIT: 0
	.section	.text._ZN9rocsparseL13ellmvn_kernelILj512ElaaffEEvT0_S1_S1_NS_24const_host_device_scalarIT4_EEPKS1_PKT1_PKT2_S4_PT3_21rocsparse_index_base_b,"axG",@progbits,_ZN9rocsparseL13ellmvn_kernelILj512ElaaffEEvT0_S1_S1_NS_24const_host_device_scalarIT4_EEPKS1_PKT1_PKT2_S4_PT3_21rocsparse_index_base_b,comdat
	.globl	_ZN9rocsparseL13ellmvn_kernelILj512ElaaffEEvT0_S1_S1_NS_24const_host_device_scalarIT4_EEPKS1_PKT1_PKT2_S4_PT3_21rocsparse_index_base_b ; -- Begin function _ZN9rocsparseL13ellmvn_kernelILj512ElaaffEEvT0_S1_S1_NS_24const_host_device_scalarIT4_EEPKS1_PKT1_PKT2_S4_PT3_21rocsparse_index_base_b
	.p2align	8
	.type	_ZN9rocsparseL13ellmvn_kernelILj512ElaaffEEvT0_S1_S1_NS_24const_host_device_scalarIT4_EEPKS1_PKT1_PKT2_S4_PT3_21rocsparse_index_base_b,@function
_ZN9rocsparseL13ellmvn_kernelILj512ElaaffEEvT0_S1_S1_NS_24const_host_device_scalarIT4_EEPKS1_PKT1_PKT2_S4_PT3_21rocsparse_index_base_b: ; @_ZN9rocsparseL13ellmvn_kernelILj512ElaaffEEvT0_S1_S1_NS_24const_host_device_scalarIT4_EEPKS1_PKT1_PKT2_S4_PT3_21rocsparse_index_base_b
; %bb.0:
	s_load_dwordx2 s[16:17], s[4:5], 0x48
	s_load_dwordx2 s[2:3], s[4:5], 0x38
	s_load_dwordx8 s[8:15], s[4:5], 0x0
	s_waitcnt lgkmcnt(0)
	s_bitcmp1_b32 s17, 0
	s_cselect_b64 s[18:19], -1, 0
	s_xor_b64 s[0:1], s[18:19], -1
	s_and_b64 vcc, exec, s[18:19]
	s_cbranch_vccnz .LBB22_2
; %bb.1:
	s_load_dword s14, s[14:15], 0x0
.LBB22_2:
	s_andn2_b64 vcc, exec, s[0:1]
	s_cbranch_vccnz .LBB22_4
; %bb.3:
	s_load_dword s2, s[2:3], 0x0
.LBB22_4:
	s_waitcnt lgkmcnt(0)
	v_cmp_neq_f32_e64 s[0:1], s14, 0
	v_cmp_neq_f32_e64 s[18:19], s2, 1.0
	s_or_b64 s[0:1], s[0:1], s[18:19]
	s_andn2_b64 vcc, exec, s[0:1]
	s_cbranch_vccnz .LBB22_15
; %bb.5:
	v_lshl_or_b32 v0, s6, 9, v0
	v_mov_b32_e32 v1, 0
	v_cmp_gt_i64_e32 vcc, s[8:9], v[0:1]
	s_and_saveexec_b64 s[0:1], vcc
	s_cbranch_execz .LBB22_15
; %bb.6:
	s_load_dwordx2 s[6:7], s[4:5], 0x40
	v_cmp_lt_i64_e64 s[0:1], s[12:13], 1
	s_and_b64 vcc, exec, s[0:1]
	v_mov_b32_e32 v8, v1
	s_cbranch_vccnz .LBB22_12
; %bb.7:
	s_load_dwordx4 s[20:23], s[4:5], 0x20
	s_load_dwordx2 s[18:19], s[4:5], 0x30
	v_lshlrev_b64 v[2:3], 3, v[0:1]
	s_add_u32 s4, s12, -1
	s_mov_b32 s0, 0
	s_waitcnt lgkmcnt(0)
	v_mov_b32_e32 v4, s21
	v_add_co_u32_e32 v2, vcc, s20, v2
	v_addc_co_u32_e32 v3, vcc, v4, v3, vcc
	s_addc_u32 s5, s13, -1
	s_lshl_b64 s[12:13], s[8:9], 3
	v_mov_b32_e32 v5, s23
	v_add_co_u32_e32 v4, vcc, s22, v0
	v_addc_co_u32_e32 v5, vcc, 0, v5, vcc
	s_mov_b64 s[20:21], 0
	v_mov_b32_e32 v8, 0
	v_mov_b32_e32 v9, s0
	;; [unrolled: 1-line block ×4, first 2 shown]
	s_branch .LBB22_9
.LBB22_8:                               ;   in Loop: Header=BB22_9 Depth=1
	s_or_b64 exec, exec, s[22:23]
	s_cmp_eq_u64 s[4:5], 0
	s_cselect_b64 s[22:23], -1, 0
	s_or_b64 s[0:1], s[0:1], s[22:23]
	s_add_u32 s4, s4, -1
	v_add_co_u32_e32 v2, vcc, s12, v2
	s_addc_u32 s5, s5, -1
	v_addc_co_u32_e32 v3, vcc, v3, v10, vcc
	s_and_b64 s[0:1], exec, s[0:1]
	v_add_co_u32_e32 v4, vcc, s8, v4
	s_or_b64 s[20:21], s[0:1], s[20:21]
	v_addc_co_u32_e32 v5, vcc, v5, v11, vcc
	s_andn2_b64 exec, exec, s[20:21]
	s_cbranch_execz .LBB22_11
.LBB22_9:                               ; =>This Inner Loop Header: Depth=1
	global_load_dwordx2 v[6:7], v[2:3], off glc slc
	s_waitcnt vmcnt(0)
	v_subrev_co_u32_e32 v6, vcc, s16, v6
	v_subb_co_u32_e32 v7, vcc, v7, v9, vcc
	v_cmp_gt_i64_e32 vcc, 0, v[6:7]
	v_cmp_le_i64_e64 s[0:1], s[10:11], v[6:7]
	s_or_b64 s[0:1], vcc, s[0:1]
	s_xor_b64 s[24:25], s[0:1], -1
	s_and_saveexec_b64 s[22:23], s[24:25]
	s_cbranch_execz .LBB22_8
; %bb.10:                               ;   in Loop: Header=BB22_9 Depth=1
	v_mov_b32_e32 v13, s19
	v_add_co_u32_e32 v6, vcc, s18, v6
	v_addc_co_u32_e32 v7, vcc, v13, v7, vcc
	global_load_sbyte v12, v[4:5], off glc slc
	s_nop 0
	global_load_sbyte v6, v[6:7], off
	s_waitcnt vmcnt(1)
	v_cvt_f32_i32_e32 v7, v12
	s_waitcnt vmcnt(0)
	v_cvt_f32_i32_e32 v6, v6
	v_fmac_f32_e32 v8, v7, v6
	s_branch .LBB22_8
.LBB22_11:
	s_or_b64 exec, exec, s[20:21]
.LBB22_12:
	v_cmp_eq_f32_e64 s[0:1], s2, 0
	s_and_b64 vcc, exec, s[0:1]
	v_mul_f32_e32 v2, s14, v8
	v_lshlrev_b64 v[0:1], 2, v[0:1]
	s_cbranch_vccz .LBB22_16
; %bb.13:
	s_waitcnt lgkmcnt(0)
	v_mov_b32_e32 v3, s7
	v_add_co_u32_e32 v4, vcc, s6, v0
	v_addc_co_u32_e32 v5, vcc, v3, v1, vcc
	global_store_dword v[4:5], v2, off glc slc
	s_cbranch_execnz .LBB22_15
.LBB22_14:
	s_waitcnt lgkmcnt(0)
	v_mov_b32_e32 v3, s7
	v_add_co_u32_e32 v0, vcc, s6, v0
	v_addc_co_u32_e32 v1, vcc, v3, v1, vcc
	global_load_dword v3, v[0:1], off glc slc
	s_waitcnt vmcnt(0)
	v_fmac_f32_e32 v2, s2, v3
	global_store_dword v[0:1], v2, off glc slc
.LBB22_15:
	s_endpgm
.LBB22_16:
	s_branch .LBB22_14
	.section	.rodata,"a",@progbits
	.p2align	6, 0x0
	.amdhsa_kernel _ZN9rocsparseL13ellmvn_kernelILj512ElaaffEEvT0_S1_S1_NS_24const_host_device_scalarIT4_EEPKS1_PKT1_PKT2_S4_PT3_21rocsparse_index_base_b
		.amdhsa_group_segment_fixed_size 0
		.amdhsa_private_segment_fixed_size 0
		.amdhsa_kernarg_size 80
		.amdhsa_user_sgpr_count 6
		.amdhsa_user_sgpr_private_segment_buffer 1
		.amdhsa_user_sgpr_dispatch_ptr 0
		.amdhsa_user_sgpr_queue_ptr 0
		.amdhsa_user_sgpr_kernarg_segment_ptr 1
		.amdhsa_user_sgpr_dispatch_id 0
		.amdhsa_user_sgpr_flat_scratch_init 0
		.amdhsa_user_sgpr_kernarg_preload_length 0
		.amdhsa_user_sgpr_kernarg_preload_offset 0
		.amdhsa_user_sgpr_private_segment_size 0
		.amdhsa_uses_dynamic_stack 0
		.amdhsa_system_sgpr_private_segment_wavefront_offset 0
		.amdhsa_system_sgpr_workgroup_id_x 1
		.amdhsa_system_sgpr_workgroup_id_y 0
		.amdhsa_system_sgpr_workgroup_id_z 0
		.amdhsa_system_sgpr_workgroup_info 0
		.amdhsa_system_vgpr_workitem_id 0
		.amdhsa_next_free_vgpr 14
		.amdhsa_next_free_sgpr 26
		.amdhsa_accum_offset 16
		.amdhsa_reserve_vcc 1
		.amdhsa_reserve_flat_scratch 0
		.amdhsa_float_round_mode_32 0
		.amdhsa_float_round_mode_16_64 0
		.amdhsa_float_denorm_mode_32 3
		.amdhsa_float_denorm_mode_16_64 3
		.amdhsa_dx10_clamp 1
		.amdhsa_ieee_mode 1
		.amdhsa_fp16_overflow 0
		.amdhsa_tg_split 0
		.amdhsa_exception_fp_ieee_invalid_op 0
		.amdhsa_exception_fp_denorm_src 0
		.amdhsa_exception_fp_ieee_div_zero 0
		.amdhsa_exception_fp_ieee_overflow 0
		.amdhsa_exception_fp_ieee_underflow 0
		.amdhsa_exception_fp_ieee_inexact 0
		.amdhsa_exception_int_div_zero 0
	.end_amdhsa_kernel
	.section	.text._ZN9rocsparseL13ellmvn_kernelILj512ElaaffEEvT0_S1_S1_NS_24const_host_device_scalarIT4_EEPKS1_PKT1_PKT2_S4_PT3_21rocsparse_index_base_b,"axG",@progbits,_ZN9rocsparseL13ellmvn_kernelILj512ElaaffEEvT0_S1_S1_NS_24const_host_device_scalarIT4_EEPKS1_PKT1_PKT2_S4_PT3_21rocsparse_index_base_b,comdat
.Lfunc_end22:
	.size	_ZN9rocsparseL13ellmvn_kernelILj512ElaaffEEvT0_S1_S1_NS_24const_host_device_scalarIT4_EEPKS1_PKT1_PKT2_S4_PT3_21rocsparse_index_base_b, .Lfunc_end22-_ZN9rocsparseL13ellmvn_kernelILj512ElaaffEEvT0_S1_S1_NS_24const_host_device_scalarIT4_EEPKS1_PKT1_PKT2_S4_PT3_21rocsparse_index_base_b
                                        ; -- End function
	.section	.AMDGPU.csdata,"",@progbits
; Kernel info:
; codeLenInByte = 516
; NumSgprs: 30
; NumVgprs: 14
; NumAgprs: 0
; TotalNumVgprs: 14
; ScratchSize: 0
; MemoryBound: 0
; FloatMode: 240
; IeeeMode: 1
; LDSByteSize: 0 bytes/workgroup (compile time only)
; SGPRBlocks: 3
; VGPRBlocks: 1
; NumSGPRsForWavesPerEU: 30
; NumVGPRsForWavesPerEU: 14
; AccumOffset: 16
; Occupancy: 8
; WaveLimiterHint : 1
; COMPUTE_PGM_RSRC2:SCRATCH_EN: 0
; COMPUTE_PGM_RSRC2:USER_SGPR: 6
; COMPUTE_PGM_RSRC2:TRAP_HANDLER: 0
; COMPUTE_PGM_RSRC2:TGID_X_EN: 1
; COMPUTE_PGM_RSRC2:TGID_Y_EN: 0
; COMPUTE_PGM_RSRC2:TGID_Z_EN: 0
; COMPUTE_PGM_RSRC2:TIDIG_COMP_CNT: 0
; COMPUTE_PGM_RSRC3_GFX90A:ACCUM_OFFSET: 3
; COMPUTE_PGM_RSRC3_GFX90A:TG_SPLIT: 0
	.section	.text._ZN9rocsparseL13ellmvt_kernelILj1024ElaaffEEv20rocsparse_operation_T0_S2_S2_NS_24const_host_device_scalarIT4_EEPKS2_PKT1_PKT2_PT3_21rocsparse_index_base_b,"axG",@progbits,_ZN9rocsparseL13ellmvt_kernelILj1024ElaaffEEv20rocsparse_operation_T0_S2_S2_NS_24const_host_device_scalarIT4_EEPKS2_PKT1_PKT2_PT3_21rocsparse_index_base_b,comdat
	.globl	_ZN9rocsparseL13ellmvt_kernelILj1024ElaaffEEv20rocsparse_operation_T0_S2_S2_NS_24const_host_device_scalarIT4_EEPKS2_PKT1_PKT2_PT3_21rocsparse_index_base_b ; -- Begin function _ZN9rocsparseL13ellmvt_kernelILj1024ElaaffEEv20rocsparse_operation_T0_S2_S2_NS_24const_host_device_scalarIT4_EEPKS2_PKT1_PKT2_PT3_21rocsparse_index_base_b
	.p2align	8
	.type	_ZN9rocsparseL13ellmvt_kernelILj1024ElaaffEEv20rocsparse_operation_T0_S2_S2_NS_24const_host_device_scalarIT4_EEPKS2_PKT1_PKT2_PT3_21rocsparse_index_base_b,@function
_ZN9rocsparseL13ellmvt_kernelILj1024ElaaffEEv20rocsparse_operation_T0_S2_S2_NS_24const_host_device_scalarIT4_EEPKS2_PKT1_PKT2_PT3_21rocsparse_index_base_b: ; @_ZN9rocsparseL13ellmvt_kernelILj1024ElaaffEEv20rocsparse_operation_T0_S2_S2_NS_24const_host_device_scalarIT4_EEPKS2_PKT1_PKT2_PT3_21rocsparse_index_base_b
; %bb.0:
	s_load_dwordx2 s[2:3], s[4:5], 0x48
	s_load_dwordx8 s[8:15], s[4:5], 0x8
	s_waitcnt lgkmcnt(0)
	s_bitcmp1_b32 s3, 0
	s_cselect_b64 s[0:1], -1, 0
	s_and_b64 vcc, exec, s[0:1]
	s_cbranch_vccnz .LBB23_2
; %bb.1:
	s_load_dword s14, s[14:15], 0x0
.LBB23_2:
	s_waitcnt lgkmcnt(0)
	v_cmp_eq_f32_e64 s[0:1], s14, 0
	s_and_b64 vcc, exec, s[0:1]
	s_cbranch_vccnz .LBB23_11
; %bb.3:
	v_lshl_or_b32 v0, s6, 10, v0
	v_mov_b32_e32 v1, 0
	v_cmp_gt_i64_e32 vcc, s[8:9], v[0:1]
	s_and_saveexec_b64 s[0:1], vcc
	s_cbranch_execz .LBB23_11
; %bb.4:
	v_cmp_lt_i64_e64 s[0:1], s[12:13], 1
	s_and_b64 vcc, exec, s[0:1]
	s_cbranch_vccnz .LBB23_11
; %bb.5:
	s_load_dwordx8 s[16:23], s[4:5], 0x28
	s_mov_b32 s0, 0
	s_mov_b64 s[4:5], 0
	v_mov_b32_e32 v6, s8
	v_mov_b32_e32 v7, s0
	s_waitcnt lgkmcnt(0)
	v_mov_b32_e32 v3, s21
	v_add_co_u32_e32 v2, vcc, s20, v0
	v_addc_co_u32_e32 v3, vcc, 0, v3, vcc
	global_load_sbyte v2, v[2:3], off
	v_mov_b32_e32 v8, s17
                                        ; implicit-def: $sgpr6_sgpr7
	s_waitcnt vmcnt(0)
	v_cvt_f32_i32_e32 v2, v2
	v_mul_f32_e32 v9, s14, v2
	s_mov_b64 s[14:15], 0
	s_branch .LBB23_7
.LBB23_6:                               ;   in Loop: Header=BB23_7 Depth=1
	s_or_b64 exec, exec, s[0:1]
	s_and_b64 s[0:1], exec, s[6:7]
	s_or_b64 s[4:5], s[0:1], s[4:5]
	s_andn2_b64 exec, exec, s[4:5]
	s_cbranch_execz .LBB23_11
.LBB23_7:                               ; =>This Loop Header: Depth=1
                                        ;     Child Loop BB23_9 Depth 2
	s_mul_i32 s0, s15, s8
	s_mul_i32 s1, s14, s9
	s_add_i32 s3, s1, s0
	v_mad_u64_u32 v[2:3], s[0:1], s14, v6, v[0:1]
	v_add_u32_e32 v3, s3, v3
	v_lshlrev_b64 v[4:5], 3, v[2:3]
	v_add_co_u32_e32 v4, vcc, s16, v4
	v_addc_co_u32_e32 v5, vcc, v8, v5, vcc
	global_load_dwordx2 v[4:5], v[4:5], off glc slc
	s_or_b64 s[6:7], s[6:7], exec
	s_waitcnt vmcnt(0)
	v_subrev_co_u32_e32 v4, vcc, s2, v4
	v_subb_co_u32_e32 v5, vcc, v5, v7, vcc
	v_cmp_lt_i64_e32 vcc, -1, v[4:5]
	v_cmp_gt_i64_e64 s[0:1], s[10:11], v[4:5]
	s_and_b64 s[20:21], vcc, s[0:1]
	s_and_saveexec_b64 s[0:1], s[20:21]
	s_cbranch_execz .LBB23_6
; %bb.8:                                ;   in Loop: Header=BB23_7 Depth=1
	v_mov_b32_e32 v10, s19
	v_add_co_u32_e32 v2, vcc, s18, v2
	v_addc_co_u32_e32 v3, vcc, v10, v3, vcc
	global_load_sbyte v10, v[2:3], off glc slc
	v_lshlrev_b64 v[2:3], 2, v[4:5]
	v_mov_b32_e32 v4, s23
	v_add_co_u32_e32 v2, vcc, s22, v2
	v_addc_co_u32_e32 v3, vcc, v4, v3, vcc
	global_load_dword v5, v[2:3], off
	s_mov_b64 s[20:21], 0
	s_waitcnt vmcnt(1)
	v_cvt_f32_i32_e32 v4, v10
	v_mul_f32_e32 v10, v9, v4
.LBB23_9:                               ;   Parent Loop BB23_7 Depth=1
                                        ; =>  This Inner Loop Header: Depth=2
	s_waitcnt vmcnt(0)
	v_add_f32_e32 v4, v5, v10
	global_atomic_cmpswap v4, v[2:3], v[4:5], off glc
	s_waitcnt vmcnt(0)
	v_cmp_eq_u32_e32 vcc, v4, v5
	s_or_b64 s[20:21], vcc, s[20:21]
	v_mov_b32_e32 v5, v4
	s_andn2_b64 exec, exec, s[20:21]
	s_cbranch_execnz .LBB23_9
; %bb.10:                               ;   in Loop: Header=BB23_7 Depth=1
	s_or_b64 exec, exec, s[20:21]
	s_add_u32 s14, s14, 1
	s_addc_u32 s15, s15, 0
	s_cmp_eq_u64 s[14:15], s[12:13]
	s_cselect_b64 s[20:21], -1, 0
	s_andn2_b64 s[6:7], s[6:7], exec
	s_and_b64 s[20:21], s[20:21], exec
	s_or_b64 s[6:7], s[6:7], s[20:21]
	s_branch .LBB23_6
.LBB23_11:
	s_endpgm
	.section	.rodata,"a",@progbits
	.p2align	6, 0x0
	.amdhsa_kernel _ZN9rocsparseL13ellmvt_kernelILj1024ElaaffEEv20rocsparse_operation_T0_S2_S2_NS_24const_host_device_scalarIT4_EEPKS2_PKT1_PKT2_PT3_21rocsparse_index_base_b
		.amdhsa_group_segment_fixed_size 0
		.amdhsa_private_segment_fixed_size 0
		.amdhsa_kernarg_size 80
		.amdhsa_user_sgpr_count 6
		.amdhsa_user_sgpr_private_segment_buffer 1
		.amdhsa_user_sgpr_dispatch_ptr 0
		.amdhsa_user_sgpr_queue_ptr 0
		.amdhsa_user_sgpr_kernarg_segment_ptr 1
		.amdhsa_user_sgpr_dispatch_id 0
		.amdhsa_user_sgpr_flat_scratch_init 0
		.amdhsa_user_sgpr_kernarg_preload_length 0
		.amdhsa_user_sgpr_kernarg_preload_offset 0
		.amdhsa_user_sgpr_private_segment_size 0
		.amdhsa_uses_dynamic_stack 0
		.amdhsa_system_sgpr_private_segment_wavefront_offset 0
		.amdhsa_system_sgpr_workgroup_id_x 1
		.amdhsa_system_sgpr_workgroup_id_y 0
		.amdhsa_system_sgpr_workgroup_id_z 0
		.amdhsa_system_sgpr_workgroup_info 0
		.amdhsa_system_vgpr_workitem_id 0
		.amdhsa_next_free_vgpr 11
		.amdhsa_next_free_sgpr 24
		.amdhsa_accum_offset 12
		.amdhsa_reserve_vcc 1
		.amdhsa_reserve_flat_scratch 0
		.amdhsa_float_round_mode_32 0
		.amdhsa_float_round_mode_16_64 0
		.amdhsa_float_denorm_mode_32 3
		.amdhsa_float_denorm_mode_16_64 3
		.amdhsa_dx10_clamp 1
		.amdhsa_ieee_mode 1
		.amdhsa_fp16_overflow 0
		.amdhsa_tg_split 0
		.amdhsa_exception_fp_ieee_invalid_op 0
		.amdhsa_exception_fp_denorm_src 0
		.amdhsa_exception_fp_ieee_div_zero 0
		.amdhsa_exception_fp_ieee_overflow 0
		.amdhsa_exception_fp_ieee_underflow 0
		.amdhsa_exception_fp_ieee_inexact 0
		.amdhsa_exception_int_div_zero 0
	.end_amdhsa_kernel
	.section	.text._ZN9rocsparseL13ellmvt_kernelILj1024ElaaffEEv20rocsparse_operation_T0_S2_S2_NS_24const_host_device_scalarIT4_EEPKS2_PKT1_PKT2_PT3_21rocsparse_index_base_b,"axG",@progbits,_ZN9rocsparseL13ellmvt_kernelILj1024ElaaffEEv20rocsparse_operation_T0_S2_S2_NS_24const_host_device_scalarIT4_EEPKS2_PKT1_PKT2_PT3_21rocsparse_index_base_b,comdat
.Lfunc_end23:
	.size	_ZN9rocsparseL13ellmvt_kernelILj1024ElaaffEEv20rocsparse_operation_T0_S2_S2_NS_24const_host_device_scalarIT4_EEPKS2_PKT1_PKT2_PT3_21rocsparse_index_base_b, .Lfunc_end23-_ZN9rocsparseL13ellmvt_kernelILj1024ElaaffEEv20rocsparse_operation_T0_S2_S2_NS_24const_host_device_scalarIT4_EEPKS2_PKT1_PKT2_PT3_21rocsparse_index_base_b
                                        ; -- End function
	.section	.AMDGPU.csdata,"",@progbits
; Kernel info:
; codeLenInByte = 428
; NumSgprs: 28
; NumVgprs: 11
; NumAgprs: 0
; TotalNumVgprs: 11
; ScratchSize: 0
; MemoryBound: 0
; FloatMode: 240
; IeeeMode: 1
; LDSByteSize: 0 bytes/workgroup (compile time only)
; SGPRBlocks: 3
; VGPRBlocks: 1
; NumSGPRsForWavesPerEU: 28
; NumVGPRsForWavesPerEU: 11
; AccumOffset: 12
; Occupancy: 8
; WaveLimiterHint : 1
; COMPUTE_PGM_RSRC2:SCRATCH_EN: 0
; COMPUTE_PGM_RSRC2:USER_SGPR: 6
; COMPUTE_PGM_RSRC2:TRAP_HANDLER: 0
; COMPUTE_PGM_RSRC2:TGID_X_EN: 1
; COMPUTE_PGM_RSRC2:TGID_Y_EN: 0
; COMPUTE_PGM_RSRC2:TGID_Z_EN: 0
; COMPUTE_PGM_RSRC2:TIDIG_COMP_CNT: 0
; COMPUTE_PGM_RSRC3_GFX90A:ACCUM_OFFSET: 2
; COMPUTE_PGM_RSRC3_GFX90A:TG_SPLIT: 0
	.section	.text._ZN9rocsparseL13ellmvn_kernelILj512EiDF16_DF16_ffEEvT0_S1_S1_NS_24const_host_device_scalarIT4_EEPKS1_PKT1_PKT2_S4_PT3_21rocsparse_index_base_b,"axG",@progbits,_ZN9rocsparseL13ellmvn_kernelILj512EiDF16_DF16_ffEEvT0_S1_S1_NS_24const_host_device_scalarIT4_EEPKS1_PKT1_PKT2_S4_PT3_21rocsparse_index_base_b,comdat
	.globl	_ZN9rocsparseL13ellmvn_kernelILj512EiDF16_DF16_ffEEvT0_S1_S1_NS_24const_host_device_scalarIT4_EEPKS1_PKT1_PKT2_S4_PT3_21rocsparse_index_base_b ; -- Begin function _ZN9rocsparseL13ellmvn_kernelILj512EiDF16_DF16_ffEEvT0_S1_S1_NS_24const_host_device_scalarIT4_EEPKS1_PKT1_PKT2_S4_PT3_21rocsparse_index_base_b
	.p2align	8
	.type	_ZN9rocsparseL13ellmvn_kernelILj512EiDF16_DF16_ffEEvT0_S1_S1_NS_24const_host_device_scalarIT4_EEPKS1_PKT1_PKT2_S4_PT3_21rocsparse_index_base_b,@function
_ZN9rocsparseL13ellmvn_kernelILj512EiDF16_DF16_ffEEvT0_S1_S1_NS_24const_host_device_scalarIT4_EEPKS1_PKT1_PKT2_S4_PT3_21rocsparse_index_base_b: ; @_ZN9rocsparseL13ellmvn_kernelILj512EiDF16_DF16_ffEEvT0_S1_S1_NS_24const_host_device_scalarIT4_EEPKS1_PKT1_PKT2_S4_PT3_21rocsparse_index_base_b
; %bb.0:
	s_load_dwordx2 s[14:15], s[4:5], 0x40
	s_load_dwordx2 s[12:13], s[4:5], 0x10
	;; [unrolled: 1-line block ×3, first 2 shown]
	s_waitcnt lgkmcnt(0)
	s_bitcmp1_b32 s15, 0
	s_cselect_b64 s[8:9], -1, 0
	s_xor_b64 s[0:1], s[8:9], -1
	s_and_b64 vcc, exec, s[8:9]
	s_cbranch_vccnz .LBB24_2
; %bb.1:
	s_load_dword s12, s[12:13], 0x0
.LBB24_2:
	s_andn2_b64 vcc, exec, s[0:1]
	s_cbranch_vccnz .LBB24_4
; %bb.3:
	s_load_dword s2, s[2:3], 0x0
.LBB24_4:
	s_waitcnt lgkmcnt(0)
	v_cmp_neq_f32_e64 s[0:1], s12, 0
	v_cmp_neq_f32_e64 s[8:9], s2, 1.0
	s_or_b64 s[0:1], s[0:1], s[8:9]
	s_andn2_b64 vcc, exec, s[0:1]
	s_cbranch_vccnz .LBB24_14
; %bb.5:
	s_load_dwordx4 s[8:11], s[4:5], 0x0
	v_lshl_or_b32 v0, s6, 9, v0
	s_waitcnt lgkmcnt(0)
	v_cmp_gt_i32_e32 vcc, s8, v0
	s_and_saveexec_b64 s[0:1], vcc
	s_cbranch_execz .LBB24_14
; %bb.6:
	s_load_dwordx2 s[6:7], s[4:5], 0x38
	s_cmp_lt_i32 s10, 1
	v_ashrrev_i32_e32 v1, 31, v0
	s_cbranch_scc1 .LBB24_15
; %bb.7:
	s_load_dwordx4 s[20:23], s[4:5], 0x18
	s_load_dwordx2 s[16:17], s[4:5], 0x28
	v_lshlrev_b64 v[2:3], 2, v[0:1]
	s_ashr_i32 s1, s8, 31
	s_mov_b32 s0, s8
	s_waitcnt lgkmcnt(0)
	v_mov_b32_e32 v4, s21
	v_add_co_u32_e32 v2, vcc, s20, v2
	v_addc_co_u32_e32 v3, vcc, v4, v3, vcc
	v_lshlrev_b64 v[4:5], 1, v[0:1]
	s_lshl_b64 s[4:5], s[0:1], 2
	v_mov_b32_e32 v6, s23
	v_add_co_u32_e32 v4, vcc, s22, v4
	s_lshl_b64 s[18:19], s[0:1], 1
	s_add_i32 s3, s10, -1
	v_addc_co_u32_e32 v5, vcc, v6, v5, vcc
	s_mov_b64 s[10:11], 0
	v_mov_b32_e32 v7, 0
	v_mov_b32_e32 v9, s5
	;; [unrolled: 1-line block ×4, first 2 shown]
	s_branch .LBB24_9
.LBB24_8:                               ;   in Loop: Header=BB24_9 Depth=1
	s_or_b64 exec, exec, s[20:21]
	s_cmp_eq_u32 s3, 0
	s_cselect_b64 s[20:21], -1, 0
	v_add_co_u32_e32 v2, vcc, s4, v2
	s_or_b64 s[0:1], s[0:1], s[20:21]
	s_add_i32 s3, s3, -1
	v_addc_co_u32_e32 v3, vcc, v3, v9, vcc
	s_and_b64 s[0:1], exec, s[0:1]
	v_add_co_u32_e32 v4, vcc, s18, v4
	s_or_b64 s[10:11], s[0:1], s[10:11]
	v_addc_co_u32_e32 v5, vcc, v5, v10, vcc
	s_andn2_b64 exec, exec, s[10:11]
	s_cbranch_execz .LBB24_11
.LBB24_9:                               ; =>This Inner Loop Header: Depth=1
	global_load_dword v6, v[2:3], off glc slc
	s_waitcnt vmcnt(0)
	v_subrev_u32_e32 v6, s14, v6
	v_cmp_gt_i32_e32 vcc, 0, v6
	v_cmp_le_i32_e64 s[0:1], s9, v6
	s_or_b64 s[0:1], vcc, s[0:1]
	s_xor_b64 s[22:23], s[0:1], -1
	s_and_saveexec_b64 s[20:21], s[22:23]
	s_cbranch_execz .LBB24_8
; %bb.10:                               ;   in Loop: Header=BB24_9 Depth=1
	v_lshlrev_b64 v[12:13], 1, v[6:7]
	v_mov_b32_e32 v6, s17
	v_add_co_u32_e32 v12, vcc, s16, v12
	v_addc_co_u32_e32 v13, vcc, v6, v13, vcc
	global_load_ushort v11, v[4:5], off
	global_load_ushort v6, v[12:13], off
	s_waitcnt vmcnt(0)
	v_fma_mix_f32 v8, v11, v6, v8 op_sel_hi:[1,1,0]
	s_branch .LBB24_8
.LBB24_11:
	s_or_b64 exec, exec, s[10:11]
	v_cmp_eq_f32_e64 s[0:1], s2, 0
	s_and_b64 vcc, exec, s[0:1]
	v_mul_f32_e32 v2, s12, v8
	s_cbranch_vccz .LBB24_16
.LBB24_12:
	v_lshlrev_b64 v[4:5], 2, v[0:1]
	s_waitcnt lgkmcnt(0)
	v_mov_b32_e32 v3, s7
	v_add_co_u32_e32 v4, vcc, s6, v4
	v_addc_co_u32_e32 v5, vcc, v3, v5, vcc
	global_store_dword v[4:5], v2, off glc slc
	s_cbranch_execnz .LBB24_14
.LBB24_13:
	v_lshlrev_b64 v[0:1], 2, v[0:1]
	s_waitcnt lgkmcnt(0)
	v_mov_b32_e32 v3, s7
	v_add_co_u32_e32 v0, vcc, s6, v0
	v_addc_co_u32_e32 v1, vcc, v3, v1, vcc
	global_load_dword v3, v[0:1], off glc slc
	s_waitcnt vmcnt(0)
	v_fmac_f32_e32 v2, s2, v3
	global_store_dword v[0:1], v2, off glc slc
.LBB24_14:
	s_endpgm
.LBB24_15:
	v_mov_b32_e32 v8, 0
	v_cmp_eq_f32_e64 s[0:1], s2, 0
	s_and_b64 vcc, exec, s[0:1]
	v_mul_f32_e32 v2, s12, v8
	s_cbranch_vccnz .LBB24_12
.LBB24_16:
	s_branch .LBB24_13
	.section	.rodata,"a",@progbits
	.p2align	6, 0x0
	.amdhsa_kernel _ZN9rocsparseL13ellmvn_kernelILj512EiDF16_DF16_ffEEvT0_S1_S1_NS_24const_host_device_scalarIT4_EEPKS1_PKT1_PKT2_S4_PT3_21rocsparse_index_base_b
		.amdhsa_group_segment_fixed_size 0
		.amdhsa_private_segment_fixed_size 0
		.amdhsa_kernarg_size 72
		.amdhsa_user_sgpr_count 6
		.amdhsa_user_sgpr_private_segment_buffer 1
		.amdhsa_user_sgpr_dispatch_ptr 0
		.amdhsa_user_sgpr_queue_ptr 0
		.amdhsa_user_sgpr_kernarg_segment_ptr 1
		.amdhsa_user_sgpr_dispatch_id 0
		.amdhsa_user_sgpr_flat_scratch_init 0
		.amdhsa_user_sgpr_kernarg_preload_length 0
		.amdhsa_user_sgpr_kernarg_preload_offset 0
		.amdhsa_user_sgpr_private_segment_size 0
		.amdhsa_uses_dynamic_stack 0
		.amdhsa_system_sgpr_private_segment_wavefront_offset 0
		.amdhsa_system_sgpr_workgroup_id_x 1
		.amdhsa_system_sgpr_workgroup_id_y 0
		.amdhsa_system_sgpr_workgroup_id_z 0
		.amdhsa_system_sgpr_workgroup_info 0
		.amdhsa_system_vgpr_workitem_id 0
		.amdhsa_next_free_vgpr 14
		.amdhsa_next_free_sgpr 24
		.amdhsa_accum_offset 16
		.amdhsa_reserve_vcc 1
		.amdhsa_reserve_flat_scratch 0
		.amdhsa_float_round_mode_32 0
		.amdhsa_float_round_mode_16_64 0
		.amdhsa_float_denorm_mode_32 3
		.amdhsa_float_denorm_mode_16_64 3
		.amdhsa_dx10_clamp 1
		.amdhsa_ieee_mode 1
		.amdhsa_fp16_overflow 0
		.amdhsa_tg_split 0
		.amdhsa_exception_fp_ieee_invalid_op 0
		.amdhsa_exception_fp_denorm_src 0
		.amdhsa_exception_fp_ieee_div_zero 0
		.amdhsa_exception_fp_ieee_overflow 0
		.amdhsa_exception_fp_ieee_underflow 0
		.amdhsa_exception_fp_ieee_inexact 0
		.amdhsa_exception_int_div_zero 0
	.end_amdhsa_kernel
	.section	.text._ZN9rocsparseL13ellmvn_kernelILj512EiDF16_DF16_ffEEvT0_S1_S1_NS_24const_host_device_scalarIT4_EEPKS1_PKT1_PKT2_S4_PT3_21rocsparse_index_base_b,"axG",@progbits,_ZN9rocsparseL13ellmvn_kernelILj512EiDF16_DF16_ffEEvT0_S1_S1_NS_24const_host_device_scalarIT4_EEPKS1_PKT1_PKT2_S4_PT3_21rocsparse_index_base_b,comdat
.Lfunc_end24:
	.size	_ZN9rocsparseL13ellmvn_kernelILj512EiDF16_DF16_ffEEvT0_S1_S1_NS_24const_host_device_scalarIT4_EEPKS1_PKT1_PKT2_S4_PT3_21rocsparse_index_base_b, .Lfunc_end24-_ZN9rocsparseL13ellmvn_kernelILj512EiDF16_DF16_ffEEvT0_S1_S1_NS_24const_host_device_scalarIT4_EEPKS1_PKT1_PKT2_S4_PT3_21rocsparse_index_base_b
                                        ; -- End function
	.section	.AMDGPU.csdata,"",@progbits
; Kernel info:
; codeLenInByte = 548
; NumSgprs: 28
; NumVgprs: 14
; NumAgprs: 0
; TotalNumVgprs: 14
; ScratchSize: 0
; MemoryBound: 0
; FloatMode: 240
; IeeeMode: 1
; LDSByteSize: 0 bytes/workgroup (compile time only)
; SGPRBlocks: 3
; VGPRBlocks: 1
; NumSGPRsForWavesPerEU: 28
; NumVGPRsForWavesPerEU: 14
; AccumOffset: 16
; Occupancy: 8
; WaveLimiterHint : 1
; COMPUTE_PGM_RSRC2:SCRATCH_EN: 0
; COMPUTE_PGM_RSRC2:USER_SGPR: 6
; COMPUTE_PGM_RSRC2:TRAP_HANDLER: 0
; COMPUTE_PGM_RSRC2:TGID_X_EN: 1
; COMPUTE_PGM_RSRC2:TGID_Y_EN: 0
; COMPUTE_PGM_RSRC2:TGID_Z_EN: 0
; COMPUTE_PGM_RSRC2:TIDIG_COMP_CNT: 0
; COMPUTE_PGM_RSRC3_GFX90A:ACCUM_OFFSET: 3
; COMPUTE_PGM_RSRC3_GFX90A:TG_SPLIT: 0
	.section	.text._ZN9rocsparseL13ellmvt_kernelILj1024EiDF16_DF16_ffEEv20rocsparse_operation_T0_S2_S2_NS_24const_host_device_scalarIT4_EEPKS2_PKT1_PKT2_PT3_21rocsparse_index_base_b,"axG",@progbits,_ZN9rocsparseL13ellmvt_kernelILj1024EiDF16_DF16_ffEEv20rocsparse_operation_T0_S2_S2_NS_24const_host_device_scalarIT4_EEPKS2_PKT1_PKT2_PT3_21rocsparse_index_base_b,comdat
	.globl	_ZN9rocsparseL13ellmvt_kernelILj1024EiDF16_DF16_ffEEv20rocsparse_operation_T0_S2_S2_NS_24const_host_device_scalarIT4_EEPKS2_PKT1_PKT2_PT3_21rocsparse_index_base_b ; -- Begin function _ZN9rocsparseL13ellmvt_kernelILj1024EiDF16_DF16_ffEEv20rocsparse_operation_T0_S2_S2_NS_24const_host_device_scalarIT4_EEPKS2_PKT1_PKT2_PT3_21rocsparse_index_base_b
	.p2align	8
	.type	_ZN9rocsparseL13ellmvt_kernelILj1024EiDF16_DF16_ffEEv20rocsparse_operation_T0_S2_S2_NS_24const_host_device_scalarIT4_EEPKS2_PKT1_PKT2_PT3_21rocsparse_index_base_b,@function
_ZN9rocsparseL13ellmvt_kernelILj1024EiDF16_DF16_ffEEv20rocsparse_operation_T0_S2_S2_NS_24const_host_device_scalarIT4_EEPKS2_PKT1_PKT2_PT3_21rocsparse_index_base_b: ; @_ZN9rocsparseL13ellmvt_kernelILj1024EiDF16_DF16_ffEEv20rocsparse_operation_T0_S2_S2_NS_24const_host_device_scalarIT4_EEPKS2_PKT1_PKT2_PT3_21rocsparse_index_base_b
; %bb.0:
	s_load_dwordx2 s[2:3], s[4:5], 0x38
	s_load_dwordx2 s[0:1], s[4:5], 0x10
	s_waitcnt lgkmcnt(0)
	s_bitcmp1_b32 s3, 0
	s_cselect_b64 s[8:9], -1, 0
	s_and_b64 vcc, exec, s[8:9]
	s_cbranch_vccnz .LBB25_2
; %bb.1:
	s_load_dword s0, s[0:1], 0x0
.LBB25_2:
	s_waitcnt lgkmcnt(0)
	v_cmp_eq_f32_e64 s[8:9], s0, 0
	s_and_b64 vcc, exec, s[8:9]
	s_cbranch_vccnz .LBB25_11
; %bb.3:
	s_load_dwordx4 s[12:15], s[4:5], 0x4
	v_lshl_or_b32 v0, s6, 10, v0
	s_waitcnt lgkmcnt(0)
	v_cmp_gt_i32_e32 vcc, s12, v0
	s_and_saveexec_b64 s[6:7], vcc
	s_cbranch_execz .LBB25_11
; %bb.4:
	s_cmp_lt_i32 s14, 1
	s_cbranch_scc1 .LBB25_11
; %bb.5:
	s_load_dwordx8 s[4:11], s[4:5], 0x18
	v_ashrrev_i32_e32 v1, 31, v0
	v_lshlrev_b64 v[2:3], 1, v[0:1]
	s_mov_b32 s1, s12
	s_ashr_i32 s3, s12, 31
	s_waitcnt lgkmcnt(0)
	v_mov_b32_e32 v4, s9
	v_add_co_u32_e32 v2, vcc, s8, v2
	v_addc_co_u32_e32 v3, vcc, v4, v3, vcc
	global_load_ushort v2, v[2:3], off
	s_mov_b32 s12, 0
	s_mov_b64 s[8:9], 0
	v_mov_b32_e32 v8, s1
	v_mov_b32_e32 v9, s5
	;; [unrolled: 1-line block ×3, first 2 shown]
                                        ; implicit-def: $sgpr16_sgpr17
	s_waitcnt vmcnt(0)
	v_cvt_f32_f16_e32 v2, v2
	v_mul_f32_e32 v10, s0, v2
	s_branch .LBB25_7
.LBB25_6:                               ;   in Loop: Header=BB25_7 Depth=1
	s_or_b64 exec, exec, s[0:1]
	s_and_b64 s[0:1], exec, s[16:17]
	s_or_b64 s[8:9], s[0:1], s[8:9]
	s_andn2_b64 exec, exec, s[8:9]
	s_cbranch_execz .LBB25_11
.LBB25_7:                               ; =>This Loop Header: Depth=1
                                        ;     Child Loop BB25_9 Depth 2
	v_mad_u64_u32 v[4:5], s[0:1], s12, v8, v[0:1]
	s_mul_i32 s0, s12, s3
	v_add_u32_e32 v5, s0, v5
	v_lshlrev_b64 v[6:7], 2, v[4:5]
	v_add_co_u32_e32 v6, vcc, s4, v6
	v_addc_co_u32_e32 v7, vcc, v9, v7, vcc
	global_load_dword v2, v[6:7], off glc slc
	s_or_b64 s[16:17], s[16:17], exec
	s_waitcnt vmcnt(0)
	v_subrev_u32_e32 v2, s2, v2
	v_cmp_lt_i32_e32 vcc, -1, v2
	v_cmp_gt_i32_e64 s[0:1], s13, v2
	s_and_b64 s[18:19], vcc, s[0:1]
	s_and_saveexec_b64 s[0:1], s[18:19]
	s_cbranch_execz .LBB25_6
; %bb.8:                                ;   in Loop: Header=BB25_7 Depth=1
	v_lshlrev_b64 v[4:5], 1, v[4:5]
	v_mov_b32_e32 v6, s7
	v_add_co_u32_e32 v4, vcc, s6, v4
	v_addc_co_u32_e32 v5, vcc, v6, v5, vcc
	global_load_ushort v6, v[4:5], off
	v_lshlrev_b64 v[4:5], 2, v[2:3]
	v_mov_b32_e32 v2, s11
	v_add_co_u32_e32 v4, vcc, s10, v4
	v_addc_co_u32_e32 v5, vcc, v2, v5, vcc
	global_load_dword v7, v[4:5], off
	s_mov_b64 s[18:19], 0
	s_waitcnt vmcnt(1)
	v_cvt_f32_f16_e32 v2, v6
	v_mul_f32_e32 v2, v10, v2
.LBB25_9:                               ;   Parent Loop BB25_7 Depth=1
                                        ; =>  This Inner Loop Header: Depth=2
	s_waitcnt vmcnt(0)
	v_add_f32_e32 v6, v7, v2
	global_atomic_cmpswap v6, v[4:5], v[6:7], off glc
	s_waitcnt vmcnt(0)
	v_cmp_eq_u32_e32 vcc, v6, v7
	s_or_b64 s[18:19], vcc, s[18:19]
	v_mov_b32_e32 v7, v6
	s_andn2_b64 exec, exec, s[18:19]
	s_cbranch_execnz .LBB25_9
; %bb.10:                               ;   in Loop: Header=BB25_7 Depth=1
	s_or_b64 exec, exec, s[18:19]
	s_add_i32 s12, s12, 1
	s_cmp_eq_u32 s12, s14
	s_cselect_b64 s[18:19], -1, 0
	s_andn2_b64 s[16:17], s[16:17], exec
	s_and_b64 s[18:19], s[18:19], exec
	s_or_b64 s[16:17], s[16:17], s[18:19]
	s_branch .LBB25_6
.LBB25_11:
	s_endpgm
	.section	.rodata,"a",@progbits
	.p2align	6, 0x0
	.amdhsa_kernel _ZN9rocsparseL13ellmvt_kernelILj1024EiDF16_DF16_ffEEv20rocsparse_operation_T0_S2_S2_NS_24const_host_device_scalarIT4_EEPKS2_PKT1_PKT2_PT3_21rocsparse_index_base_b
		.amdhsa_group_segment_fixed_size 0
		.amdhsa_private_segment_fixed_size 0
		.amdhsa_kernarg_size 64
		.amdhsa_user_sgpr_count 6
		.amdhsa_user_sgpr_private_segment_buffer 1
		.amdhsa_user_sgpr_dispatch_ptr 0
		.amdhsa_user_sgpr_queue_ptr 0
		.amdhsa_user_sgpr_kernarg_segment_ptr 1
		.amdhsa_user_sgpr_dispatch_id 0
		.amdhsa_user_sgpr_flat_scratch_init 0
		.amdhsa_user_sgpr_kernarg_preload_length 0
		.amdhsa_user_sgpr_kernarg_preload_offset 0
		.amdhsa_user_sgpr_private_segment_size 0
		.amdhsa_uses_dynamic_stack 0
		.amdhsa_system_sgpr_private_segment_wavefront_offset 0
		.amdhsa_system_sgpr_workgroup_id_x 1
		.amdhsa_system_sgpr_workgroup_id_y 0
		.amdhsa_system_sgpr_workgroup_id_z 0
		.amdhsa_system_sgpr_workgroup_info 0
		.amdhsa_system_vgpr_workitem_id 0
		.amdhsa_next_free_vgpr 11
		.amdhsa_next_free_sgpr 20
		.amdhsa_accum_offset 12
		.amdhsa_reserve_vcc 1
		.amdhsa_reserve_flat_scratch 0
		.amdhsa_float_round_mode_32 0
		.amdhsa_float_round_mode_16_64 0
		.amdhsa_float_denorm_mode_32 3
		.amdhsa_float_denorm_mode_16_64 3
		.amdhsa_dx10_clamp 1
		.amdhsa_ieee_mode 1
		.amdhsa_fp16_overflow 0
		.amdhsa_tg_split 0
		.amdhsa_exception_fp_ieee_invalid_op 0
		.amdhsa_exception_fp_denorm_src 0
		.amdhsa_exception_fp_ieee_div_zero 0
		.amdhsa_exception_fp_ieee_overflow 0
		.amdhsa_exception_fp_ieee_underflow 0
		.amdhsa_exception_fp_ieee_inexact 0
		.amdhsa_exception_int_div_zero 0
	.end_amdhsa_kernel
	.section	.text._ZN9rocsparseL13ellmvt_kernelILj1024EiDF16_DF16_ffEEv20rocsparse_operation_T0_S2_S2_NS_24const_host_device_scalarIT4_EEPKS2_PKT1_PKT2_PT3_21rocsparse_index_base_b,"axG",@progbits,_ZN9rocsparseL13ellmvt_kernelILj1024EiDF16_DF16_ffEEv20rocsparse_operation_T0_S2_S2_NS_24const_host_device_scalarIT4_EEPKS2_PKT1_PKT2_PT3_21rocsparse_index_base_b,comdat
.Lfunc_end25:
	.size	_ZN9rocsparseL13ellmvt_kernelILj1024EiDF16_DF16_ffEEv20rocsparse_operation_T0_S2_S2_NS_24const_host_device_scalarIT4_EEPKS2_PKT1_PKT2_PT3_21rocsparse_index_base_b, .Lfunc_end25-_ZN9rocsparseL13ellmvt_kernelILj1024EiDF16_DF16_ffEEv20rocsparse_operation_T0_S2_S2_NS_24const_host_device_scalarIT4_EEPKS2_PKT1_PKT2_PT3_21rocsparse_index_base_b
                                        ; -- End function
	.section	.AMDGPU.csdata,"",@progbits
; Kernel info:
; codeLenInByte = 436
; NumSgprs: 24
; NumVgprs: 11
; NumAgprs: 0
; TotalNumVgprs: 11
; ScratchSize: 0
; MemoryBound: 0
; FloatMode: 240
; IeeeMode: 1
; LDSByteSize: 0 bytes/workgroup (compile time only)
; SGPRBlocks: 2
; VGPRBlocks: 1
; NumSGPRsForWavesPerEU: 24
; NumVGPRsForWavesPerEU: 11
; AccumOffset: 12
; Occupancy: 8
; WaveLimiterHint : 1
; COMPUTE_PGM_RSRC2:SCRATCH_EN: 0
; COMPUTE_PGM_RSRC2:USER_SGPR: 6
; COMPUTE_PGM_RSRC2:TRAP_HANDLER: 0
; COMPUTE_PGM_RSRC2:TGID_X_EN: 1
; COMPUTE_PGM_RSRC2:TGID_Y_EN: 0
; COMPUTE_PGM_RSRC2:TGID_Z_EN: 0
; COMPUTE_PGM_RSRC2:TIDIG_COMP_CNT: 0
; COMPUTE_PGM_RSRC3_GFX90A:ACCUM_OFFSET: 2
; COMPUTE_PGM_RSRC3_GFX90A:TG_SPLIT: 0
	.section	.text._ZN9rocsparseL13ellmvn_kernelILj512ElDF16_DF16_ffEEvT0_S1_S1_NS_24const_host_device_scalarIT4_EEPKS1_PKT1_PKT2_S4_PT3_21rocsparse_index_base_b,"axG",@progbits,_ZN9rocsparseL13ellmvn_kernelILj512ElDF16_DF16_ffEEvT0_S1_S1_NS_24const_host_device_scalarIT4_EEPKS1_PKT1_PKT2_S4_PT3_21rocsparse_index_base_b,comdat
	.globl	_ZN9rocsparseL13ellmvn_kernelILj512ElDF16_DF16_ffEEvT0_S1_S1_NS_24const_host_device_scalarIT4_EEPKS1_PKT1_PKT2_S4_PT3_21rocsparse_index_base_b ; -- Begin function _ZN9rocsparseL13ellmvn_kernelILj512ElDF16_DF16_ffEEvT0_S1_S1_NS_24const_host_device_scalarIT4_EEPKS1_PKT1_PKT2_S4_PT3_21rocsparse_index_base_b
	.p2align	8
	.type	_ZN9rocsparseL13ellmvn_kernelILj512ElDF16_DF16_ffEEvT0_S1_S1_NS_24const_host_device_scalarIT4_EEPKS1_PKT1_PKT2_S4_PT3_21rocsparse_index_base_b,@function
_ZN9rocsparseL13ellmvn_kernelILj512ElDF16_DF16_ffEEvT0_S1_S1_NS_24const_host_device_scalarIT4_EEPKS1_PKT1_PKT2_S4_PT3_21rocsparse_index_base_b: ; @_ZN9rocsparseL13ellmvn_kernelILj512ElDF16_DF16_ffEEvT0_S1_S1_NS_24const_host_device_scalarIT4_EEPKS1_PKT1_PKT2_S4_PT3_21rocsparse_index_base_b
; %bb.0:
	s_load_dwordx2 s[16:17], s[4:5], 0x48
	s_load_dwordx2 s[2:3], s[4:5], 0x38
	s_load_dwordx8 s[8:15], s[4:5], 0x0
	s_waitcnt lgkmcnt(0)
	s_bitcmp1_b32 s17, 0
	s_cselect_b64 s[18:19], -1, 0
	s_xor_b64 s[0:1], s[18:19], -1
	s_and_b64 vcc, exec, s[18:19]
	s_cbranch_vccnz .LBB26_2
; %bb.1:
	s_load_dword s14, s[14:15], 0x0
.LBB26_2:
	s_andn2_b64 vcc, exec, s[0:1]
	s_cbranch_vccnz .LBB26_4
; %bb.3:
	s_load_dword s2, s[2:3], 0x0
.LBB26_4:
	s_waitcnt lgkmcnt(0)
	v_cmp_neq_f32_e64 s[0:1], s14, 0
	v_cmp_neq_f32_e64 s[18:19], s2, 1.0
	s_or_b64 s[0:1], s[0:1], s[18:19]
	s_andn2_b64 vcc, exec, s[0:1]
	s_cbranch_vccnz .LBB26_15
; %bb.5:
	v_lshl_or_b32 v0, s6, 9, v0
	v_mov_b32_e32 v1, 0
	v_cmp_gt_i64_e32 vcc, s[8:9], v[0:1]
	s_and_saveexec_b64 s[0:1], vcc
	s_cbranch_execz .LBB26_15
; %bb.6:
	s_load_dwordx2 s[6:7], s[4:5], 0x40
	v_cmp_lt_i64_e64 s[0:1], s[12:13], 1
	s_and_b64 vcc, exec, s[0:1]
	v_mov_b32_e32 v8, v1
	s_cbranch_vccnz .LBB26_12
; %bb.7:
	s_load_dwordx4 s[20:23], s[4:5], 0x20
	s_load_dwordx2 s[18:19], s[4:5], 0x30
	v_lshlrev_b64 v[2:3], 3, v[0:1]
	s_add_u32 s4, s12, -1
	s_mov_b32 s0, 0
	s_waitcnt lgkmcnt(0)
	v_mov_b32_e32 v4, s21
	v_add_co_u32_e32 v2, vcc, s20, v2
	v_addc_co_u32_e32 v3, vcc, v4, v3, vcc
	v_lshlrev_b64 v[4:5], 1, v[0:1]
	s_addc_u32 s5, s13, -1
	s_lshl_b64 s[12:13], s[8:9], 3
	v_mov_b32_e32 v6, s23
	v_add_co_u32_e32 v4, vcc, s22, v4
	s_lshl_b64 s[20:21], s[8:9], 1
	v_addc_co_u32_e32 v5, vcc, v6, v5, vcc
	s_mov_b64 s[8:9], 0
	v_mov_b32_e32 v8, 0
	v_mov_b32_e32 v9, s0
	v_mov_b32_e32 v10, s13
	v_mov_b32_e32 v11, s21
	s_branch .LBB26_9
.LBB26_8:                               ;   in Loop: Header=BB26_9 Depth=1
	s_or_b64 exec, exec, s[22:23]
	s_cmp_eq_u64 s[4:5], 0
	s_cselect_b64 s[22:23], -1, 0
	s_or_b64 s[0:1], s[0:1], s[22:23]
	s_add_u32 s4, s4, -1
	v_add_co_u32_e32 v2, vcc, s12, v2
	s_addc_u32 s5, s5, -1
	v_addc_co_u32_e32 v3, vcc, v3, v10, vcc
	s_and_b64 s[0:1], exec, s[0:1]
	v_add_co_u32_e32 v4, vcc, s20, v4
	s_or_b64 s[8:9], s[0:1], s[8:9]
	v_addc_co_u32_e32 v5, vcc, v5, v11, vcc
	s_andn2_b64 exec, exec, s[8:9]
	s_cbranch_execz .LBB26_11
.LBB26_9:                               ; =>This Inner Loop Header: Depth=1
	global_load_dwordx2 v[6:7], v[2:3], off glc slc
	s_waitcnt vmcnt(0)
	v_subrev_co_u32_e32 v6, vcc, s16, v6
	v_subb_co_u32_e32 v7, vcc, v7, v9, vcc
	v_cmp_gt_i64_e32 vcc, 0, v[6:7]
	v_cmp_le_i64_e64 s[0:1], s[10:11], v[6:7]
	s_or_b64 s[0:1], vcc, s[0:1]
	s_xor_b64 s[24:25], s[0:1], -1
	s_and_saveexec_b64 s[22:23], s[24:25]
	s_cbranch_execz .LBB26_8
; %bb.10:                               ;   in Loop: Header=BB26_9 Depth=1
	v_lshlrev_b64 v[6:7], 1, v[6:7]
	v_mov_b32_e32 v13, s19
	v_add_co_u32_e32 v6, vcc, s18, v6
	v_addc_co_u32_e32 v7, vcc, v13, v7, vcc
	global_load_ushort v12, v[4:5], off
	s_nop 0
	global_load_ushort v6, v[6:7], off
	s_waitcnt vmcnt(0)
	v_fma_mix_f32 v8, v12, v6, v8 op_sel_hi:[1,1,0]
	s_branch .LBB26_8
.LBB26_11:
	s_or_b64 exec, exec, s[8:9]
.LBB26_12:
	v_cmp_eq_f32_e64 s[0:1], s2, 0
	s_and_b64 vcc, exec, s[0:1]
	v_mul_f32_e32 v2, s14, v8
	v_lshlrev_b64 v[0:1], 2, v[0:1]
	s_cbranch_vccz .LBB26_16
; %bb.13:
	s_waitcnt lgkmcnt(0)
	v_mov_b32_e32 v3, s7
	v_add_co_u32_e32 v4, vcc, s6, v0
	v_addc_co_u32_e32 v5, vcc, v3, v1, vcc
	global_store_dword v[4:5], v2, off glc slc
	s_cbranch_execnz .LBB26_15
.LBB26_14:
	s_waitcnt lgkmcnt(0)
	v_mov_b32_e32 v3, s7
	v_add_co_u32_e32 v0, vcc, s6, v0
	v_addc_co_u32_e32 v1, vcc, v3, v1, vcc
	global_load_dword v3, v[0:1], off glc slc
	s_waitcnt vmcnt(0)
	v_fmac_f32_e32 v2, s2, v3
	global_store_dword v[0:1], v2, off glc slc
.LBB26_15:
	s_endpgm
.LBB26_16:
	s_branch .LBB26_14
	.section	.rodata,"a",@progbits
	.p2align	6, 0x0
	.amdhsa_kernel _ZN9rocsparseL13ellmvn_kernelILj512ElDF16_DF16_ffEEvT0_S1_S1_NS_24const_host_device_scalarIT4_EEPKS1_PKT1_PKT2_S4_PT3_21rocsparse_index_base_b
		.amdhsa_group_segment_fixed_size 0
		.amdhsa_private_segment_fixed_size 0
		.amdhsa_kernarg_size 80
		.amdhsa_user_sgpr_count 6
		.amdhsa_user_sgpr_private_segment_buffer 1
		.amdhsa_user_sgpr_dispatch_ptr 0
		.amdhsa_user_sgpr_queue_ptr 0
		.amdhsa_user_sgpr_kernarg_segment_ptr 1
		.amdhsa_user_sgpr_dispatch_id 0
		.amdhsa_user_sgpr_flat_scratch_init 0
		.amdhsa_user_sgpr_kernarg_preload_length 0
		.amdhsa_user_sgpr_kernarg_preload_offset 0
		.amdhsa_user_sgpr_private_segment_size 0
		.amdhsa_uses_dynamic_stack 0
		.amdhsa_system_sgpr_private_segment_wavefront_offset 0
		.amdhsa_system_sgpr_workgroup_id_x 1
		.amdhsa_system_sgpr_workgroup_id_y 0
		.amdhsa_system_sgpr_workgroup_id_z 0
		.amdhsa_system_sgpr_workgroup_info 0
		.amdhsa_system_vgpr_workitem_id 0
		.amdhsa_next_free_vgpr 14
		.amdhsa_next_free_sgpr 26
		.amdhsa_accum_offset 16
		.amdhsa_reserve_vcc 1
		.amdhsa_reserve_flat_scratch 0
		.amdhsa_float_round_mode_32 0
		.amdhsa_float_round_mode_16_64 0
		.amdhsa_float_denorm_mode_32 3
		.amdhsa_float_denorm_mode_16_64 3
		.amdhsa_dx10_clamp 1
		.amdhsa_ieee_mode 1
		.amdhsa_fp16_overflow 0
		.amdhsa_tg_split 0
		.amdhsa_exception_fp_ieee_invalid_op 0
		.amdhsa_exception_fp_denorm_src 0
		.amdhsa_exception_fp_ieee_div_zero 0
		.amdhsa_exception_fp_ieee_overflow 0
		.amdhsa_exception_fp_ieee_underflow 0
		.amdhsa_exception_fp_ieee_inexact 0
		.amdhsa_exception_int_div_zero 0
	.end_amdhsa_kernel
	.section	.text._ZN9rocsparseL13ellmvn_kernelILj512ElDF16_DF16_ffEEvT0_S1_S1_NS_24const_host_device_scalarIT4_EEPKS1_PKT1_PKT2_S4_PT3_21rocsparse_index_base_b,"axG",@progbits,_ZN9rocsparseL13ellmvn_kernelILj512ElDF16_DF16_ffEEvT0_S1_S1_NS_24const_host_device_scalarIT4_EEPKS1_PKT1_PKT2_S4_PT3_21rocsparse_index_base_b,comdat
.Lfunc_end26:
	.size	_ZN9rocsparseL13ellmvn_kernelILj512ElDF16_DF16_ffEEvT0_S1_S1_NS_24const_host_device_scalarIT4_EEPKS1_PKT1_PKT2_S4_PT3_21rocsparse_index_base_b, .Lfunc_end26-_ZN9rocsparseL13ellmvn_kernelILj512ElDF16_DF16_ffEEvT0_S1_S1_NS_24const_host_device_scalarIT4_EEPKS1_PKT1_PKT2_S4_PT3_21rocsparse_index_base_b
                                        ; -- End function
	.section	.AMDGPU.csdata,"",@progbits
; Kernel info:
; codeLenInByte = 528
; NumSgprs: 30
; NumVgprs: 14
; NumAgprs: 0
; TotalNumVgprs: 14
; ScratchSize: 0
; MemoryBound: 0
; FloatMode: 240
; IeeeMode: 1
; LDSByteSize: 0 bytes/workgroup (compile time only)
; SGPRBlocks: 3
; VGPRBlocks: 1
; NumSGPRsForWavesPerEU: 30
; NumVGPRsForWavesPerEU: 14
; AccumOffset: 16
; Occupancy: 8
; WaveLimiterHint : 1
; COMPUTE_PGM_RSRC2:SCRATCH_EN: 0
; COMPUTE_PGM_RSRC2:USER_SGPR: 6
; COMPUTE_PGM_RSRC2:TRAP_HANDLER: 0
; COMPUTE_PGM_RSRC2:TGID_X_EN: 1
; COMPUTE_PGM_RSRC2:TGID_Y_EN: 0
; COMPUTE_PGM_RSRC2:TGID_Z_EN: 0
; COMPUTE_PGM_RSRC2:TIDIG_COMP_CNT: 0
; COMPUTE_PGM_RSRC3_GFX90A:ACCUM_OFFSET: 3
; COMPUTE_PGM_RSRC3_GFX90A:TG_SPLIT: 0
	.section	.text._ZN9rocsparseL13ellmvt_kernelILj1024ElDF16_DF16_ffEEv20rocsparse_operation_T0_S2_S2_NS_24const_host_device_scalarIT4_EEPKS2_PKT1_PKT2_PT3_21rocsparse_index_base_b,"axG",@progbits,_ZN9rocsparseL13ellmvt_kernelILj1024ElDF16_DF16_ffEEv20rocsparse_operation_T0_S2_S2_NS_24const_host_device_scalarIT4_EEPKS2_PKT1_PKT2_PT3_21rocsparse_index_base_b,comdat
	.globl	_ZN9rocsparseL13ellmvt_kernelILj1024ElDF16_DF16_ffEEv20rocsparse_operation_T0_S2_S2_NS_24const_host_device_scalarIT4_EEPKS2_PKT1_PKT2_PT3_21rocsparse_index_base_b ; -- Begin function _ZN9rocsparseL13ellmvt_kernelILj1024ElDF16_DF16_ffEEv20rocsparse_operation_T0_S2_S2_NS_24const_host_device_scalarIT4_EEPKS2_PKT1_PKT2_PT3_21rocsparse_index_base_b
	.p2align	8
	.type	_ZN9rocsparseL13ellmvt_kernelILj1024ElDF16_DF16_ffEEv20rocsparse_operation_T0_S2_S2_NS_24const_host_device_scalarIT4_EEPKS2_PKT1_PKT2_PT3_21rocsparse_index_base_b,@function
_ZN9rocsparseL13ellmvt_kernelILj1024ElDF16_DF16_ffEEv20rocsparse_operation_T0_S2_S2_NS_24const_host_device_scalarIT4_EEPKS2_PKT1_PKT2_PT3_21rocsparse_index_base_b: ; @_ZN9rocsparseL13ellmvt_kernelILj1024ElDF16_DF16_ffEEv20rocsparse_operation_T0_S2_S2_NS_24const_host_device_scalarIT4_EEPKS2_PKT1_PKT2_PT3_21rocsparse_index_base_b
; %bb.0:
	s_load_dwordx2 s[2:3], s[4:5], 0x48
	s_load_dwordx8 s[8:15], s[4:5], 0x8
	s_waitcnt lgkmcnt(0)
	s_bitcmp1_b32 s3, 0
	s_cselect_b64 s[0:1], -1, 0
	s_and_b64 vcc, exec, s[0:1]
	s_cbranch_vccnz .LBB27_2
; %bb.1:
	s_load_dword s14, s[14:15], 0x0
.LBB27_2:
	s_waitcnt lgkmcnt(0)
	v_cmp_eq_f32_e64 s[0:1], s14, 0
	s_and_b64 vcc, exec, s[0:1]
	s_cbranch_vccnz .LBB27_11
; %bb.3:
	v_lshl_or_b32 v0, s6, 10, v0
	v_mov_b32_e32 v1, 0
	v_cmp_gt_i64_e32 vcc, s[8:9], v[0:1]
	s_and_saveexec_b64 s[0:1], vcc
	s_cbranch_execz .LBB27_11
; %bb.4:
	v_cmp_lt_i64_e64 s[0:1], s[12:13], 1
	s_and_b64 vcc, exec, s[0:1]
	s_cbranch_vccnz .LBB27_11
; %bb.5:
	s_load_dwordx8 s[16:23], s[4:5], 0x28
	v_lshlrev_b64 v[2:3], 1, v[0:1]
	s_mov_b32 s0, 0
	s_mov_b64 s[4:5], 0
	v_mov_b32_e32 v6, s8
	s_waitcnt lgkmcnt(0)
	v_mov_b32_e32 v4, s21
	v_add_co_u32_e32 v2, vcc, s20, v2
	v_addc_co_u32_e32 v3, vcc, v4, v3, vcc
	global_load_ushort v2, v[2:3], off
	v_mov_b32_e32 v7, s0
	v_mov_b32_e32 v8, s17
                                        ; implicit-def: $sgpr6_sgpr7
	s_waitcnt vmcnt(0)
	v_cvt_f32_f16_e32 v2, v2
	v_mul_f32_e32 v9, s14, v2
	s_mov_b64 s[14:15], 0
	s_branch .LBB27_7
.LBB27_6:                               ;   in Loop: Header=BB27_7 Depth=1
	s_or_b64 exec, exec, s[0:1]
	s_and_b64 s[0:1], exec, s[6:7]
	s_or_b64 s[4:5], s[0:1], s[4:5]
	s_andn2_b64 exec, exec, s[4:5]
	s_cbranch_execz .LBB27_11
.LBB27_7:                               ; =>This Loop Header: Depth=1
                                        ;     Child Loop BB27_9 Depth 2
	s_mul_i32 s0, s15, s8
	s_mul_i32 s1, s14, s9
	s_add_i32 s3, s1, s0
	v_mad_u64_u32 v[2:3], s[0:1], s14, v6, v[0:1]
	v_add_u32_e32 v3, s3, v3
	v_lshlrev_b64 v[4:5], 3, v[2:3]
	v_add_co_u32_e32 v4, vcc, s16, v4
	v_addc_co_u32_e32 v5, vcc, v8, v5, vcc
	global_load_dwordx2 v[4:5], v[4:5], off glc slc
	s_or_b64 s[6:7], s[6:7], exec
	s_waitcnt vmcnt(0)
	v_subrev_co_u32_e32 v4, vcc, s2, v4
	v_subb_co_u32_e32 v5, vcc, v5, v7, vcc
	v_cmp_lt_i64_e32 vcc, -1, v[4:5]
	v_cmp_gt_i64_e64 s[0:1], s[10:11], v[4:5]
	s_and_b64 s[20:21], vcc, s[0:1]
	s_and_saveexec_b64 s[0:1], s[20:21]
	s_cbranch_execz .LBB27_6
; %bb.8:                                ;   in Loop: Header=BB27_7 Depth=1
	v_lshlrev_b64 v[2:3], 1, v[2:3]
	v_mov_b32_e32 v10, s19
	v_add_co_u32_e32 v2, vcc, s18, v2
	v_addc_co_u32_e32 v3, vcc, v10, v3, vcc
	global_load_ushort v10, v[2:3], off
	v_lshlrev_b64 v[2:3], 2, v[4:5]
	v_mov_b32_e32 v4, s23
	v_add_co_u32_e32 v2, vcc, s22, v2
	v_addc_co_u32_e32 v3, vcc, v4, v3, vcc
	global_load_dword v5, v[2:3], off
	s_mov_b64 s[20:21], 0
	s_waitcnt vmcnt(1)
	v_cvt_f32_f16_e32 v4, v10
	v_mul_f32_e32 v10, v9, v4
.LBB27_9:                               ;   Parent Loop BB27_7 Depth=1
                                        ; =>  This Inner Loop Header: Depth=2
	s_waitcnt vmcnt(0)
	v_add_f32_e32 v4, v5, v10
	global_atomic_cmpswap v4, v[2:3], v[4:5], off glc
	s_waitcnt vmcnt(0)
	v_cmp_eq_u32_e32 vcc, v4, v5
	s_or_b64 s[20:21], vcc, s[20:21]
	v_mov_b32_e32 v5, v4
	s_andn2_b64 exec, exec, s[20:21]
	s_cbranch_execnz .LBB27_9
; %bb.10:                               ;   in Loop: Header=BB27_7 Depth=1
	s_or_b64 exec, exec, s[20:21]
	s_add_u32 s14, s14, 1
	s_addc_u32 s15, s15, 0
	s_cmp_eq_u64 s[14:15], s[12:13]
	s_cselect_b64 s[20:21], -1, 0
	s_andn2_b64 s[6:7], s[6:7], exec
	s_and_b64 s[20:21], s[20:21], exec
	s_or_b64 s[6:7], s[6:7], s[20:21]
	s_branch .LBB27_6
.LBB27_11:
	s_endpgm
	.section	.rodata,"a",@progbits
	.p2align	6, 0x0
	.amdhsa_kernel _ZN9rocsparseL13ellmvt_kernelILj1024ElDF16_DF16_ffEEv20rocsparse_operation_T0_S2_S2_NS_24const_host_device_scalarIT4_EEPKS2_PKT1_PKT2_PT3_21rocsparse_index_base_b
		.amdhsa_group_segment_fixed_size 0
		.amdhsa_private_segment_fixed_size 0
		.amdhsa_kernarg_size 80
		.amdhsa_user_sgpr_count 6
		.amdhsa_user_sgpr_private_segment_buffer 1
		.amdhsa_user_sgpr_dispatch_ptr 0
		.amdhsa_user_sgpr_queue_ptr 0
		.amdhsa_user_sgpr_kernarg_segment_ptr 1
		.amdhsa_user_sgpr_dispatch_id 0
		.amdhsa_user_sgpr_flat_scratch_init 0
		.amdhsa_user_sgpr_kernarg_preload_length 0
		.amdhsa_user_sgpr_kernarg_preload_offset 0
		.amdhsa_user_sgpr_private_segment_size 0
		.amdhsa_uses_dynamic_stack 0
		.amdhsa_system_sgpr_private_segment_wavefront_offset 0
		.amdhsa_system_sgpr_workgroup_id_x 1
		.amdhsa_system_sgpr_workgroup_id_y 0
		.amdhsa_system_sgpr_workgroup_id_z 0
		.amdhsa_system_sgpr_workgroup_info 0
		.amdhsa_system_vgpr_workitem_id 0
		.amdhsa_next_free_vgpr 11
		.amdhsa_next_free_sgpr 24
		.amdhsa_accum_offset 12
		.amdhsa_reserve_vcc 1
		.amdhsa_reserve_flat_scratch 0
		.amdhsa_float_round_mode_32 0
		.amdhsa_float_round_mode_16_64 0
		.amdhsa_float_denorm_mode_32 3
		.amdhsa_float_denorm_mode_16_64 3
		.amdhsa_dx10_clamp 1
		.amdhsa_ieee_mode 1
		.amdhsa_fp16_overflow 0
		.amdhsa_tg_split 0
		.amdhsa_exception_fp_ieee_invalid_op 0
		.amdhsa_exception_fp_denorm_src 0
		.amdhsa_exception_fp_ieee_div_zero 0
		.amdhsa_exception_fp_ieee_overflow 0
		.amdhsa_exception_fp_ieee_underflow 0
		.amdhsa_exception_fp_ieee_inexact 0
		.amdhsa_exception_int_div_zero 0
	.end_amdhsa_kernel
	.section	.text._ZN9rocsparseL13ellmvt_kernelILj1024ElDF16_DF16_ffEEv20rocsparse_operation_T0_S2_S2_NS_24const_host_device_scalarIT4_EEPKS2_PKT1_PKT2_PT3_21rocsparse_index_base_b,"axG",@progbits,_ZN9rocsparseL13ellmvt_kernelILj1024ElDF16_DF16_ffEEv20rocsparse_operation_T0_S2_S2_NS_24const_host_device_scalarIT4_EEPKS2_PKT1_PKT2_PT3_21rocsparse_index_base_b,comdat
.Lfunc_end27:
	.size	_ZN9rocsparseL13ellmvt_kernelILj1024ElDF16_DF16_ffEEv20rocsparse_operation_T0_S2_S2_NS_24const_host_device_scalarIT4_EEPKS2_PKT1_PKT2_PT3_21rocsparse_index_base_b, .Lfunc_end27-_ZN9rocsparseL13ellmvt_kernelILj1024ElDF16_DF16_ffEEv20rocsparse_operation_T0_S2_S2_NS_24const_host_device_scalarIT4_EEPKS2_PKT1_PKT2_PT3_21rocsparse_index_base_b
                                        ; -- End function
	.section	.AMDGPU.csdata,"",@progbits
; Kernel info:
; codeLenInByte = 444
; NumSgprs: 28
; NumVgprs: 11
; NumAgprs: 0
; TotalNumVgprs: 11
; ScratchSize: 0
; MemoryBound: 0
; FloatMode: 240
; IeeeMode: 1
; LDSByteSize: 0 bytes/workgroup (compile time only)
; SGPRBlocks: 3
; VGPRBlocks: 1
; NumSGPRsForWavesPerEU: 28
; NumVGPRsForWavesPerEU: 11
; AccumOffset: 12
; Occupancy: 8
; WaveLimiterHint : 1
; COMPUTE_PGM_RSRC2:SCRATCH_EN: 0
; COMPUTE_PGM_RSRC2:USER_SGPR: 6
; COMPUTE_PGM_RSRC2:TRAP_HANDLER: 0
; COMPUTE_PGM_RSRC2:TGID_X_EN: 1
; COMPUTE_PGM_RSRC2:TGID_Y_EN: 0
; COMPUTE_PGM_RSRC2:TGID_Z_EN: 0
; COMPUTE_PGM_RSRC2:TIDIG_COMP_CNT: 0
; COMPUTE_PGM_RSRC3_GFX90A:ACCUM_OFFSET: 2
; COMPUTE_PGM_RSRC3_GFX90A:TG_SPLIT: 0
	.section	.text._ZN9rocsparseL13ellmvn_kernelILj512Ei18rocsparse_bfloat16S1_ffEEvT0_S2_S2_NS_24const_host_device_scalarIT4_EEPKS2_PKT1_PKT2_S5_PT3_21rocsparse_index_base_b,"axG",@progbits,_ZN9rocsparseL13ellmvn_kernelILj512Ei18rocsparse_bfloat16S1_ffEEvT0_S2_S2_NS_24const_host_device_scalarIT4_EEPKS2_PKT1_PKT2_S5_PT3_21rocsparse_index_base_b,comdat
	.globl	_ZN9rocsparseL13ellmvn_kernelILj512Ei18rocsparse_bfloat16S1_ffEEvT0_S2_S2_NS_24const_host_device_scalarIT4_EEPKS2_PKT1_PKT2_S5_PT3_21rocsparse_index_base_b ; -- Begin function _ZN9rocsparseL13ellmvn_kernelILj512Ei18rocsparse_bfloat16S1_ffEEvT0_S2_S2_NS_24const_host_device_scalarIT4_EEPKS2_PKT1_PKT2_S5_PT3_21rocsparse_index_base_b
	.p2align	8
	.type	_ZN9rocsparseL13ellmvn_kernelILj512Ei18rocsparse_bfloat16S1_ffEEvT0_S2_S2_NS_24const_host_device_scalarIT4_EEPKS2_PKT1_PKT2_S5_PT3_21rocsparse_index_base_b,@function
_ZN9rocsparseL13ellmvn_kernelILj512Ei18rocsparse_bfloat16S1_ffEEvT0_S2_S2_NS_24const_host_device_scalarIT4_EEPKS2_PKT1_PKT2_S5_PT3_21rocsparse_index_base_b: ; @_ZN9rocsparseL13ellmvn_kernelILj512Ei18rocsparse_bfloat16S1_ffEEvT0_S2_S2_NS_24const_host_device_scalarIT4_EEPKS2_PKT1_PKT2_S5_PT3_21rocsparse_index_base_b
; %bb.0:
	s_load_dwordx2 s[14:15], s[4:5], 0x40
	s_load_dwordx2 s[12:13], s[4:5], 0x10
	;; [unrolled: 1-line block ×3, first 2 shown]
	s_waitcnt lgkmcnt(0)
	s_bitcmp1_b32 s15, 0
	s_cselect_b64 s[8:9], -1, 0
	s_xor_b64 s[0:1], s[8:9], -1
	s_and_b64 vcc, exec, s[8:9]
	s_cbranch_vccnz .LBB28_2
; %bb.1:
	s_load_dword s12, s[12:13], 0x0
.LBB28_2:
	s_andn2_b64 vcc, exec, s[0:1]
	s_cbranch_vccnz .LBB28_4
; %bb.3:
	s_load_dword s2, s[2:3], 0x0
.LBB28_4:
	s_waitcnt lgkmcnt(0)
	v_cmp_neq_f32_e64 s[0:1], s12, 0
	v_cmp_neq_f32_e64 s[8:9], s2, 1.0
	s_or_b64 s[0:1], s[0:1], s[8:9]
	s_andn2_b64 vcc, exec, s[0:1]
	s_cbranch_vccnz .LBB28_14
; %bb.5:
	s_load_dwordx4 s[8:11], s[4:5], 0x0
	v_lshl_or_b32 v0, s6, 9, v0
	s_waitcnt lgkmcnt(0)
	v_cmp_gt_i32_e32 vcc, s8, v0
	s_and_saveexec_b64 s[0:1], vcc
	s_cbranch_execz .LBB28_14
; %bb.6:
	s_load_dwordx2 s[6:7], s[4:5], 0x38
	s_cmp_lt_i32 s10, 1
	v_ashrrev_i32_e32 v1, 31, v0
	s_cbranch_scc1 .LBB28_15
; %bb.7:
	s_load_dwordx4 s[20:23], s[4:5], 0x18
	s_load_dwordx2 s[16:17], s[4:5], 0x28
	v_lshlrev_b64 v[2:3], 2, v[0:1]
	s_ashr_i32 s1, s8, 31
	s_mov_b32 s0, s8
	s_waitcnt lgkmcnt(0)
	v_mov_b32_e32 v4, s21
	v_add_co_u32_e32 v2, vcc, s20, v2
	v_addc_co_u32_e32 v3, vcc, v4, v3, vcc
	v_lshlrev_b64 v[4:5], 1, v[0:1]
	s_lshl_b64 s[4:5], s[0:1], 2
	v_mov_b32_e32 v6, s23
	v_add_co_u32_e32 v4, vcc, s22, v4
	s_lshl_b64 s[18:19], s[0:1], 1
	s_add_i32 s3, s10, -1
	v_addc_co_u32_e32 v5, vcc, v6, v5, vcc
	s_mov_b64 s[10:11], 0
	v_mov_b32_e32 v7, 0
	v_mov_b32_e32 v9, s5
	;; [unrolled: 1-line block ×4, first 2 shown]
	s_branch .LBB28_9
.LBB28_8:                               ;   in Loop: Header=BB28_9 Depth=1
	s_or_b64 exec, exec, s[20:21]
	s_cmp_eq_u32 s3, 0
	s_cselect_b64 s[20:21], -1, 0
	v_add_co_u32_e32 v2, vcc, s4, v2
	s_or_b64 s[0:1], s[0:1], s[20:21]
	s_add_i32 s3, s3, -1
	v_addc_co_u32_e32 v3, vcc, v3, v9, vcc
	s_and_b64 s[0:1], exec, s[0:1]
	v_add_co_u32_e32 v4, vcc, s18, v4
	s_or_b64 s[10:11], s[0:1], s[10:11]
	v_addc_co_u32_e32 v5, vcc, v5, v10, vcc
	s_andn2_b64 exec, exec, s[10:11]
	s_cbranch_execz .LBB28_11
.LBB28_9:                               ; =>This Inner Loop Header: Depth=1
	global_load_dword v6, v[2:3], off glc slc
	s_waitcnt vmcnt(0)
	v_subrev_u32_e32 v6, s14, v6
	v_cmp_gt_i32_e32 vcc, 0, v6
	v_cmp_le_i32_e64 s[0:1], s9, v6
	s_or_b64 s[0:1], vcc, s[0:1]
	s_xor_b64 s[22:23], s[0:1], -1
	s_and_saveexec_b64 s[20:21], s[22:23]
	s_cbranch_execz .LBB28_8
; %bb.10:                               ;   in Loop: Header=BB28_9 Depth=1
	v_lshlrev_b64 v[12:13], 1, v[6:7]
	v_mov_b32_e32 v6, s17
	v_add_co_u32_e32 v12, vcc, s16, v12
	v_addc_co_u32_e32 v13, vcc, v6, v13, vcc
	global_load_ushort v11, v[4:5], off
	global_load_ushort v6, v[12:13], off
	s_waitcnt vmcnt(1)
	v_lshlrev_b32_e32 v11, 16, v11
	s_waitcnt vmcnt(0)
	v_lshlrev_b32_e32 v6, 16, v6
	v_fmac_f32_e32 v8, v11, v6
	s_branch .LBB28_8
.LBB28_11:
	s_or_b64 exec, exec, s[10:11]
	v_cmp_eq_f32_e64 s[0:1], s2, 0
	s_and_b64 vcc, exec, s[0:1]
	v_mul_f32_e32 v2, s12, v8
	s_cbranch_vccz .LBB28_16
.LBB28_12:
	v_lshlrev_b64 v[4:5], 2, v[0:1]
	s_waitcnt lgkmcnt(0)
	v_mov_b32_e32 v3, s7
	v_add_co_u32_e32 v4, vcc, s6, v4
	v_addc_co_u32_e32 v5, vcc, v3, v5, vcc
	global_store_dword v[4:5], v2, off glc slc
	s_cbranch_execnz .LBB28_14
.LBB28_13:
	v_lshlrev_b64 v[0:1], 2, v[0:1]
	s_waitcnt lgkmcnt(0)
	v_mov_b32_e32 v3, s7
	v_add_co_u32_e32 v0, vcc, s6, v0
	v_addc_co_u32_e32 v1, vcc, v3, v1, vcc
	global_load_dword v3, v[0:1], off glc slc
	s_waitcnt vmcnt(0)
	v_fmac_f32_e32 v2, s2, v3
	global_store_dword v[0:1], v2, off glc slc
.LBB28_14:
	s_endpgm
.LBB28_15:
	v_mov_b32_e32 v8, 0
	v_cmp_eq_f32_e64 s[0:1], s2, 0
	s_and_b64 vcc, exec, s[0:1]
	v_mul_f32_e32 v2, s12, v8
	s_cbranch_vccnz .LBB28_12
.LBB28_16:
	s_branch .LBB28_13
	.section	.rodata,"a",@progbits
	.p2align	6, 0x0
	.amdhsa_kernel _ZN9rocsparseL13ellmvn_kernelILj512Ei18rocsparse_bfloat16S1_ffEEvT0_S2_S2_NS_24const_host_device_scalarIT4_EEPKS2_PKT1_PKT2_S5_PT3_21rocsparse_index_base_b
		.amdhsa_group_segment_fixed_size 0
		.amdhsa_private_segment_fixed_size 0
		.amdhsa_kernarg_size 72
		.amdhsa_user_sgpr_count 6
		.amdhsa_user_sgpr_private_segment_buffer 1
		.amdhsa_user_sgpr_dispatch_ptr 0
		.amdhsa_user_sgpr_queue_ptr 0
		.amdhsa_user_sgpr_kernarg_segment_ptr 1
		.amdhsa_user_sgpr_dispatch_id 0
		.amdhsa_user_sgpr_flat_scratch_init 0
		.amdhsa_user_sgpr_kernarg_preload_length 0
		.amdhsa_user_sgpr_kernarg_preload_offset 0
		.amdhsa_user_sgpr_private_segment_size 0
		.amdhsa_uses_dynamic_stack 0
		.amdhsa_system_sgpr_private_segment_wavefront_offset 0
		.amdhsa_system_sgpr_workgroup_id_x 1
		.amdhsa_system_sgpr_workgroup_id_y 0
		.amdhsa_system_sgpr_workgroup_id_z 0
		.amdhsa_system_sgpr_workgroup_info 0
		.amdhsa_system_vgpr_workitem_id 0
		.amdhsa_next_free_vgpr 14
		.amdhsa_next_free_sgpr 24
		.amdhsa_accum_offset 16
		.amdhsa_reserve_vcc 1
		.amdhsa_reserve_flat_scratch 0
		.amdhsa_float_round_mode_32 0
		.amdhsa_float_round_mode_16_64 0
		.amdhsa_float_denorm_mode_32 3
		.amdhsa_float_denorm_mode_16_64 3
		.amdhsa_dx10_clamp 1
		.amdhsa_ieee_mode 1
		.amdhsa_fp16_overflow 0
		.amdhsa_tg_split 0
		.amdhsa_exception_fp_ieee_invalid_op 0
		.amdhsa_exception_fp_denorm_src 0
		.amdhsa_exception_fp_ieee_div_zero 0
		.amdhsa_exception_fp_ieee_overflow 0
		.amdhsa_exception_fp_ieee_underflow 0
		.amdhsa_exception_fp_ieee_inexact 0
		.amdhsa_exception_int_div_zero 0
	.end_amdhsa_kernel
	.section	.text._ZN9rocsparseL13ellmvn_kernelILj512Ei18rocsparse_bfloat16S1_ffEEvT0_S2_S2_NS_24const_host_device_scalarIT4_EEPKS2_PKT1_PKT2_S5_PT3_21rocsparse_index_base_b,"axG",@progbits,_ZN9rocsparseL13ellmvn_kernelILj512Ei18rocsparse_bfloat16S1_ffEEvT0_S2_S2_NS_24const_host_device_scalarIT4_EEPKS2_PKT1_PKT2_S5_PT3_21rocsparse_index_base_b,comdat
.Lfunc_end28:
	.size	_ZN9rocsparseL13ellmvn_kernelILj512Ei18rocsparse_bfloat16S1_ffEEvT0_S2_S2_NS_24const_host_device_scalarIT4_EEPKS2_PKT1_PKT2_S5_PT3_21rocsparse_index_base_b, .Lfunc_end28-_ZN9rocsparseL13ellmvn_kernelILj512Ei18rocsparse_bfloat16S1_ffEEvT0_S2_S2_NS_24const_host_device_scalarIT4_EEPKS2_PKT1_PKT2_S5_PT3_21rocsparse_index_base_b
                                        ; -- End function
	.section	.AMDGPU.csdata,"",@progbits
; Kernel info:
; codeLenInByte = 556
; NumSgprs: 28
; NumVgprs: 14
; NumAgprs: 0
; TotalNumVgprs: 14
; ScratchSize: 0
; MemoryBound: 0
; FloatMode: 240
; IeeeMode: 1
; LDSByteSize: 0 bytes/workgroup (compile time only)
; SGPRBlocks: 3
; VGPRBlocks: 1
; NumSGPRsForWavesPerEU: 28
; NumVGPRsForWavesPerEU: 14
; AccumOffset: 16
; Occupancy: 8
; WaveLimiterHint : 1
; COMPUTE_PGM_RSRC2:SCRATCH_EN: 0
; COMPUTE_PGM_RSRC2:USER_SGPR: 6
; COMPUTE_PGM_RSRC2:TRAP_HANDLER: 0
; COMPUTE_PGM_RSRC2:TGID_X_EN: 1
; COMPUTE_PGM_RSRC2:TGID_Y_EN: 0
; COMPUTE_PGM_RSRC2:TGID_Z_EN: 0
; COMPUTE_PGM_RSRC2:TIDIG_COMP_CNT: 0
; COMPUTE_PGM_RSRC3_GFX90A:ACCUM_OFFSET: 3
; COMPUTE_PGM_RSRC3_GFX90A:TG_SPLIT: 0
	.section	.text._ZN9rocsparseL13ellmvt_kernelILj1024Ei18rocsparse_bfloat16S1_ffEEv20rocsparse_operation_T0_S3_S3_NS_24const_host_device_scalarIT4_EEPKS3_PKT1_PKT2_PT3_21rocsparse_index_base_b,"axG",@progbits,_ZN9rocsparseL13ellmvt_kernelILj1024Ei18rocsparse_bfloat16S1_ffEEv20rocsparse_operation_T0_S3_S3_NS_24const_host_device_scalarIT4_EEPKS3_PKT1_PKT2_PT3_21rocsparse_index_base_b,comdat
	.globl	_ZN9rocsparseL13ellmvt_kernelILj1024Ei18rocsparse_bfloat16S1_ffEEv20rocsparse_operation_T0_S3_S3_NS_24const_host_device_scalarIT4_EEPKS3_PKT1_PKT2_PT3_21rocsparse_index_base_b ; -- Begin function _ZN9rocsparseL13ellmvt_kernelILj1024Ei18rocsparse_bfloat16S1_ffEEv20rocsparse_operation_T0_S3_S3_NS_24const_host_device_scalarIT4_EEPKS3_PKT1_PKT2_PT3_21rocsparse_index_base_b
	.p2align	8
	.type	_ZN9rocsparseL13ellmvt_kernelILj1024Ei18rocsparse_bfloat16S1_ffEEv20rocsparse_operation_T0_S3_S3_NS_24const_host_device_scalarIT4_EEPKS3_PKT1_PKT2_PT3_21rocsparse_index_base_b,@function
_ZN9rocsparseL13ellmvt_kernelILj1024Ei18rocsparse_bfloat16S1_ffEEv20rocsparse_operation_T0_S3_S3_NS_24const_host_device_scalarIT4_EEPKS3_PKT1_PKT2_PT3_21rocsparse_index_base_b: ; @_ZN9rocsparseL13ellmvt_kernelILj1024Ei18rocsparse_bfloat16S1_ffEEv20rocsparse_operation_T0_S3_S3_NS_24const_host_device_scalarIT4_EEPKS3_PKT1_PKT2_PT3_21rocsparse_index_base_b
; %bb.0:
	s_load_dwordx2 s[2:3], s[4:5], 0x38
	s_load_dwordx2 s[0:1], s[4:5], 0x10
	s_waitcnt lgkmcnt(0)
	s_bitcmp1_b32 s3, 0
	s_cselect_b64 s[8:9], -1, 0
	s_and_b64 vcc, exec, s[8:9]
	s_cbranch_vccnz .LBB29_2
; %bb.1:
	s_load_dword s0, s[0:1], 0x0
.LBB29_2:
	s_waitcnt lgkmcnt(0)
	v_cmp_eq_f32_e64 s[8:9], s0, 0
	s_and_b64 vcc, exec, s[8:9]
	s_cbranch_vccnz .LBB29_11
; %bb.3:
	s_load_dwordx4 s[12:15], s[4:5], 0x4
	v_lshl_or_b32 v0, s6, 10, v0
	s_waitcnt lgkmcnt(0)
	v_cmp_gt_i32_e32 vcc, s12, v0
	s_and_saveexec_b64 s[6:7], vcc
	s_cbranch_execz .LBB29_11
; %bb.4:
	s_cmp_lt_i32 s14, 1
	s_cbranch_scc1 .LBB29_11
; %bb.5:
	s_load_dwordx8 s[4:11], s[4:5], 0x18
	v_ashrrev_i32_e32 v1, 31, v0
	v_lshlrev_b64 v[2:3], 1, v[0:1]
	s_mov_b32 s1, s12
	s_ashr_i32 s3, s12, 31
	s_waitcnt lgkmcnt(0)
	v_mov_b32_e32 v4, s9
	v_add_co_u32_e32 v2, vcc, s8, v2
	v_addc_co_u32_e32 v3, vcc, v4, v3, vcc
	global_load_ushort v2, v[2:3], off
	s_mov_b32 s12, 0
	s_mov_b64 s[8:9], 0
	v_mov_b32_e32 v8, s1
	v_mov_b32_e32 v9, s5
	;; [unrolled: 1-line block ×3, first 2 shown]
                                        ; implicit-def: $sgpr16_sgpr17
	s_waitcnt vmcnt(0)
	v_lshlrev_b32_e32 v2, 16, v2
	v_mul_f32_e32 v10, s0, v2
	s_branch .LBB29_7
.LBB29_6:                               ;   in Loop: Header=BB29_7 Depth=1
	s_or_b64 exec, exec, s[0:1]
	s_and_b64 s[0:1], exec, s[16:17]
	s_or_b64 s[8:9], s[0:1], s[8:9]
	s_andn2_b64 exec, exec, s[8:9]
	s_cbranch_execz .LBB29_11
.LBB29_7:                               ; =>This Loop Header: Depth=1
                                        ;     Child Loop BB29_9 Depth 2
	v_mad_u64_u32 v[4:5], s[0:1], s12, v8, v[0:1]
	s_mul_i32 s0, s12, s3
	v_add_u32_e32 v5, s0, v5
	v_lshlrev_b64 v[6:7], 2, v[4:5]
	v_add_co_u32_e32 v6, vcc, s4, v6
	v_addc_co_u32_e32 v7, vcc, v9, v7, vcc
	global_load_dword v2, v[6:7], off glc slc
	s_or_b64 s[16:17], s[16:17], exec
	s_waitcnt vmcnt(0)
	v_subrev_u32_e32 v2, s2, v2
	v_cmp_lt_i32_e32 vcc, -1, v2
	v_cmp_gt_i32_e64 s[0:1], s13, v2
	s_and_b64 s[18:19], vcc, s[0:1]
	s_and_saveexec_b64 s[0:1], s[18:19]
	s_cbranch_execz .LBB29_6
; %bb.8:                                ;   in Loop: Header=BB29_7 Depth=1
	v_lshlrev_b64 v[4:5], 1, v[4:5]
	v_mov_b32_e32 v6, s7
	v_add_co_u32_e32 v4, vcc, s6, v4
	v_addc_co_u32_e32 v5, vcc, v6, v5, vcc
	v_lshlrev_b64 v[6:7], 2, v[2:3]
	v_mov_b32_e32 v2, s11
	global_load_ushort v11, v[4:5], off
	v_add_co_u32_e32 v4, vcc, s10, v6
	v_addc_co_u32_e32 v5, vcc, v2, v7, vcc
	global_load_dword v7, v[4:5], off
	s_mov_b64 s[18:19], 0
	s_waitcnt vmcnt(1)
	v_lshlrev_b32_e32 v2, 16, v11
	v_mul_f32_e32 v2, v10, v2
.LBB29_9:                               ;   Parent Loop BB29_7 Depth=1
                                        ; =>  This Inner Loop Header: Depth=2
	s_waitcnt vmcnt(0)
	v_add_f32_e32 v6, v7, v2
	global_atomic_cmpswap v6, v[4:5], v[6:7], off glc
	s_waitcnt vmcnt(0)
	v_cmp_eq_u32_e32 vcc, v6, v7
	s_or_b64 s[18:19], vcc, s[18:19]
	v_mov_b32_e32 v7, v6
	s_andn2_b64 exec, exec, s[18:19]
	s_cbranch_execnz .LBB29_9
; %bb.10:                               ;   in Loop: Header=BB29_7 Depth=1
	s_or_b64 exec, exec, s[18:19]
	s_add_i32 s12, s12, 1
	s_cmp_eq_u32 s12, s14
	s_cselect_b64 s[18:19], -1, 0
	s_andn2_b64 s[16:17], s[16:17], exec
	s_and_b64 s[18:19], s[18:19], exec
	s_or_b64 s[16:17], s[16:17], s[18:19]
	s_branch .LBB29_6
.LBB29_11:
	s_endpgm
	.section	.rodata,"a",@progbits
	.p2align	6, 0x0
	.amdhsa_kernel _ZN9rocsparseL13ellmvt_kernelILj1024Ei18rocsparse_bfloat16S1_ffEEv20rocsparse_operation_T0_S3_S3_NS_24const_host_device_scalarIT4_EEPKS3_PKT1_PKT2_PT3_21rocsparse_index_base_b
		.amdhsa_group_segment_fixed_size 0
		.amdhsa_private_segment_fixed_size 0
		.amdhsa_kernarg_size 64
		.amdhsa_user_sgpr_count 6
		.amdhsa_user_sgpr_private_segment_buffer 1
		.amdhsa_user_sgpr_dispatch_ptr 0
		.amdhsa_user_sgpr_queue_ptr 0
		.amdhsa_user_sgpr_kernarg_segment_ptr 1
		.amdhsa_user_sgpr_dispatch_id 0
		.amdhsa_user_sgpr_flat_scratch_init 0
		.amdhsa_user_sgpr_kernarg_preload_length 0
		.amdhsa_user_sgpr_kernarg_preload_offset 0
		.amdhsa_user_sgpr_private_segment_size 0
		.amdhsa_uses_dynamic_stack 0
		.amdhsa_system_sgpr_private_segment_wavefront_offset 0
		.amdhsa_system_sgpr_workgroup_id_x 1
		.amdhsa_system_sgpr_workgroup_id_y 0
		.amdhsa_system_sgpr_workgroup_id_z 0
		.amdhsa_system_sgpr_workgroup_info 0
		.amdhsa_system_vgpr_workitem_id 0
		.amdhsa_next_free_vgpr 12
		.amdhsa_next_free_sgpr 20
		.amdhsa_accum_offset 12
		.amdhsa_reserve_vcc 1
		.amdhsa_reserve_flat_scratch 0
		.amdhsa_float_round_mode_32 0
		.amdhsa_float_round_mode_16_64 0
		.amdhsa_float_denorm_mode_32 3
		.amdhsa_float_denorm_mode_16_64 3
		.amdhsa_dx10_clamp 1
		.amdhsa_ieee_mode 1
		.amdhsa_fp16_overflow 0
		.amdhsa_tg_split 0
		.amdhsa_exception_fp_ieee_invalid_op 0
		.amdhsa_exception_fp_denorm_src 0
		.amdhsa_exception_fp_ieee_div_zero 0
		.amdhsa_exception_fp_ieee_overflow 0
		.amdhsa_exception_fp_ieee_underflow 0
		.amdhsa_exception_fp_ieee_inexact 0
		.amdhsa_exception_int_div_zero 0
	.end_amdhsa_kernel
	.section	.text._ZN9rocsparseL13ellmvt_kernelILj1024Ei18rocsparse_bfloat16S1_ffEEv20rocsparse_operation_T0_S3_S3_NS_24const_host_device_scalarIT4_EEPKS3_PKT1_PKT2_PT3_21rocsparse_index_base_b,"axG",@progbits,_ZN9rocsparseL13ellmvt_kernelILj1024Ei18rocsparse_bfloat16S1_ffEEv20rocsparse_operation_T0_S3_S3_NS_24const_host_device_scalarIT4_EEPKS3_PKT1_PKT2_PT3_21rocsparse_index_base_b,comdat
.Lfunc_end29:
	.size	_ZN9rocsparseL13ellmvt_kernelILj1024Ei18rocsparse_bfloat16S1_ffEEv20rocsparse_operation_T0_S3_S3_NS_24const_host_device_scalarIT4_EEPKS3_PKT1_PKT2_PT3_21rocsparse_index_base_b, .Lfunc_end29-_ZN9rocsparseL13ellmvt_kernelILj1024Ei18rocsparse_bfloat16S1_ffEEv20rocsparse_operation_T0_S3_S3_NS_24const_host_device_scalarIT4_EEPKS3_PKT1_PKT2_PT3_21rocsparse_index_base_b
                                        ; -- End function
	.section	.AMDGPU.csdata,"",@progbits
; Kernel info:
; codeLenInByte = 436
; NumSgprs: 24
; NumVgprs: 12
; NumAgprs: 0
; TotalNumVgprs: 12
; ScratchSize: 0
; MemoryBound: 0
; FloatMode: 240
; IeeeMode: 1
; LDSByteSize: 0 bytes/workgroup (compile time only)
; SGPRBlocks: 2
; VGPRBlocks: 1
; NumSGPRsForWavesPerEU: 24
; NumVGPRsForWavesPerEU: 12
; AccumOffset: 12
; Occupancy: 8
; WaveLimiterHint : 1
; COMPUTE_PGM_RSRC2:SCRATCH_EN: 0
; COMPUTE_PGM_RSRC2:USER_SGPR: 6
; COMPUTE_PGM_RSRC2:TRAP_HANDLER: 0
; COMPUTE_PGM_RSRC2:TGID_X_EN: 1
; COMPUTE_PGM_RSRC2:TGID_Y_EN: 0
; COMPUTE_PGM_RSRC2:TGID_Z_EN: 0
; COMPUTE_PGM_RSRC2:TIDIG_COMP_CNT: 0
; COMPUTE_PGM_RSRC3_GFX90A:ACCUM_OFFSET: 2
; COMPUTE_PGM_RSRC3_GFX90A:TG_SPLIT: 0
	.section	.text._ZN9rocsparseL13ellmvn_kernelILj512El18rocsparse_bfloat16S1_ffEEvT0_S2_S2_NS_24const_host_device_scalarIT4_EEPKS2_PKT1_PKT2_S5_PT3_21rocsparse_index_base_b,"axG",@progbits,_ZN9rocsparseL13ellmvn_kernelILj512El18rocsparse_bfloat16S1_ffEEvT0_S2_S2_NS_24const_host_device_scalarIT4_EEPKS2_PKT1_PKT2_S5_PT3_21rocsparse_index_base_b,comdat
	.globl	_ZN9rocsparseL13ellmvn_kernelILj512El18rocsparse_bfloat16S1_ffEEvT0_S2_S2_NS_24const_host_device_scalarIT4_EEPKS2_PKT1_PKT2_S5_PT3_21rocsparse_index_base_b ; -- Begin function _ZN9rocsparseL13ellmvn_kernelILj512El18rocsparse_bfloat16S1_ffEEvT0_S2_S2_NS_24const_host_device_scalarIT4_EEPKS2_PKT1_PKT2_S5_PT3_21rocsparse_index_base_b
	.p2align	8
	.type	_ZN9rocsparseL13ellmvn_kernelILj512El18rocsparse_bfloat16S1_ffEEvT0_S2_S2_NS_24const_host_device_scalarIT4_EEPKS2_PKT1_PKT2_S5_PT3_21rocsparse_index_base_b,@function
_ZN9rocsparseL13ellmvn_kernelILj512El18rocsparse_bfloat16S1_ffEEvT0_S2_S2_NS_24const_host_device_scalarIT4_EEPKS2_PKT1_PKT2_S5_PT3_21rocsparse_index_base_b: ; @_ZN9rocsparseL13ellmvn_kernelILj512El18rocsparse_bfloat16S1_ffEEvT0_S2_S2_NS_24const_host_device_scalarIT4_EEPKS2_PKT1_PKT2_S5_PT3_21rocsparse_index_base_b
; %bb.0:
	s_load_dwordx2 s[16:17], s[4:5], 0x48
	s_load_dwordx2 s[2:3], s[4:5], 0x38
	s_load_dwordx8 s[8:15], s[4:5], 0x0
	s_waitcnt lgkmcnt(0)
	s_bitcmp1_b32 s17, 0
	s_cselect_b64 s[18:19], -1, 0
	s_xor_b64 s[0:1], s[18:19], -1
	s_and_b64 vcc, exec, s[18:19]
	s_cbranch_vccnz .LBB30_2
; %bb.1:
	s_load_dword s14, s[14:15], 0x0
.LBB30_2:
	s_andn2_b64 vcc, exec, s[0:1]
	s_cbranch_vccnz .LBB30_4
; %bb.3:
	s_load_dword s2, s[2:3], 0x0
.LBB30_4:
	s_waitcnt lgkmcnt(0)
	v_cmp_neq_f32_e64 s[0:1], s14, 0
	v_cmp_neq_f32_e64 s[18:19], s2, 1.0
	s_or_b64 s[0:1], s[0:1], s[18:19]
	s_andn2_b64 vcc, exec, s[0:1]
	s_cbranch_vccnz .LBB30_15
; %bb.5:
	v_lshl_or_b32 v0, s6, 9, v0
	v_mov_b32_e32 v1, 0
	v_cmp_gt_i64_e32 vcc, s[8:9], v[0:1]
	s_and_saveexec_b64 s[0:1], vcc
	s_cbranch_execz .LBB30_15
; %bb.6:
	s_load_dwordx2 s[6:7], s[4:5], 0x40
	v_cmp_lt_i64_e64 s[0:1], s[12:13], 1
	s_and_b64 vcc, exec, s[0:1]
	v_mov_b32_e32 v8, v1
	s_cbranch_vccnz .LBB30_12
; %bb.7:
	s_load_dwordx4 s[20:23], s[4:5], 0x20
	s_load_dwordx2 s[18:19], s[4:5], 0x30
	v_lshlrev_b64 v[2:3], 3, v[0:1]
	s_add_u32 s4, s12, -1
	s_mov_b32 s0, 0
	s_waitcnt lgkmcnt(0)
	v_mov_b32_e32 v4, s21
	v_add_co_u32_e32 v2, vcc, s20, v2
	v_addc_co_u32_e32 v3, vcc, v4, v3, vcc
	v_lshlrev_b64 v[4:5], 1, v[0:1]
	s_addc_u32 s5, s13, -1
	s_lshl_b64 s[12:13], s[8:9], 3
	v_mov_b32_e32 v6, s23
	v_add_co_u32_e32 v4, vcc, s22, v4
	s_lshl_b64 s[20:21], s[8:9], 1
	v_addc_co_u32_e32 v5, vcc, v6, v5, vcc
	s_mov_b64 s[8:9], 0
	v_mov_b32_e32 v8, 0
	v_mov_b32_e32 v9, s0
	;; [unrolled: 1-line block ×4, first 2 shown]
	s_branch .LBB30_9
.LBB30_8:                               ;   in Loop: Header=BB30_9 Depth=1
	s_or_b64 exec, exec, s[22:23]
	s_cmp_eq_u64 s[4:5], 0
	s_cselect_b64 s[22:23], -1, 0
	s_or_b64 s[0:1], s[0:1], s[22:23]
	s_add_u32 s4, s4, -1
	v_add_co_u32_e32 v2, vcc, s12, v2
	s_addc_u32 s5, s5, -1
	v_addc_co_u32_e32 v3, vcc, v3, v10, vcc
	s_and_b64 s[0:1], exec, s[0:1]
	v_add_co_u32_e32 v4, vcc, s20, v4
	s_or_b64 s[8:9], s[0:1], s[8:9]
	v_addc_co_u32_e32 v5, vcc, v5, v11, vcc
	s_andn2_b64 exec, exec, s[8:9]
	s_cbranch_execz .LBB30_11
.LBB30_9:                               ; =>This Inner Loop Header: Depth=1
	global_load_dwordx2 v[6:7], v[2:3], off glc slc
	s_waitcnt vmcnt(0)
	v_subrev_co_u32_e32 v6, vcc, s16, v6
	v_subb_co_u32_e32 v7, vcc, v7, v9, vcc
	v_cmp_gt_i64_e32 vcc, 0, v[6:7]
	v_cmp_le_i64_e64 s[0:1], s[10:11], v[6:7]
	s_or_b64 s[0:1], vcc, s[0:1]
	s_xor_b64 s[24:25], s[0:1], -1
	s_and_saveexec_b64 s[22:23], s[24:25]
	s_cbranch_execz .LBB30_8
; %bb.10:                               ;   in Loop: Header=BB30_9 Depth=1
	v_lshlrev_b64 v[6:7], 1, v[6:7]
	v_mov_b32_e32 v13, s19
	v_add_co_u32_e32 v6, vcc, s18, v6
	v_addc_co_u32_e32 v7, vcc, v13, v7, vcc
	global_load_ushort v12, v[4:5], off
	s_nop 0
	global_load_ushort v6, v[6:7], off
	s_waitcnt vmcnt(1)
	v_lshlrev_b32_e32 v7, 16, v12
	s_waitcnt vmcnt(0)
	v_lshlrev_b32_e32 v6, 16, v6
	v_fmac_f32_e32 v8, v7, v6
	s_branch .LBB30_8
.LBB30_11:
	s_or_b64 exec, exec, s[8:9]
.LBB30_12:
	v_cmp_eq_f32_e64 s[0:1], s2, 0
	s_and_b64 vcc, exec, s[0:1]
	v_mul_f32_e32 v2, s14, v8
	v_lshlrev_b64 v[0:1], 2, v[0:1]
	s_cbranch_vccz .LBB30_16
; %bb.13:
	s_waitcnt lgkmcnt(0)
	v_mov_b32_e32 v3, s7
	v_add_co_u32_e32 v4, vcc, s6, v0
	v_addc_co_u32_e32 v5, vcc, v3, v1, vcc
	global_store_dword v[4:5], v2, off glc slc
	s_cbranch_execnz .LBB30_15
.LBB30_14:
	s_waitcnt lgkmcnt(0)
	v_mov_b32_e32 v3, s7
	v_add_co_u32_e32 v0, vcc, s6, v0
	v_addc_co_u32_e32 v1, vcc, v3, v1, vcc
	global_load_dword v3, v[0:1], off glc slc
	s_waitcnt vmcnt(0)
	v_fmac_f32_e32 v2, s2, v3
	global_store_dword v[0:1], v2, off glc slc
.LBB30_15:
	s_endpgm
.LBB30_16:
	s_branch .LBB30_14
	.section	.rodata,"a",@progbits
	.p2align	6, 0x0
	.amdhsa_kernel _ZN9rocsparseL13ellmvn_kernelILj512El18rocsparse_bfloat16S1_ffEEvT0_S2_S2_NS_24const_host_device_scalarIT4_EEPKS2_PKT1_PKT2_S5_PT3_21rocsparse_index_base_b
		.amdhsa_group_segment_fixed_size 0
		.amdhsa_private_segment_fixed_size 0
		.amdhsa_kernarg_size 80
		.amdhsa_user_sgpr_count 6
		.amdhsa_user_sgpr_private_segment_buffer 1
		.amdhsa_user_sgpr_dispatch_ptr 0
		.amdhsa_user_sgpr_queue_ptr 0
		.amdhsa_user_sgpr_kernarg_segment_ptr 1
		.amdhsa_user_sgpr_dispatch_id 0
		.amdhsa_user_sgpr_flat_scratch_init 0
		.amdhsa_user_sgpr_kernarg_preload_length 0
		.amdhsa_user_sgpr_kernarg_preload_offset 0
		.amdhsa_user_sgpr_private_segment_size 0
		.amdhsa_uses_dynamic_stack 0
		.amdhsa_system_sgpr_private_segment_wavefront_offset 0
		.amdhsa_system_sgpr_workgroup_id_x 1
		.amdhsa_system_sgpr_workgroup_id_y 0
		.amdhsa_system_sgpr_workgroup_id_z 0
		.amdhsa_system_sgpr_workgroup_info 0
		.amdhsa_system_vgpr_workitem_id 0
		.amdhsa_next_free_vgpr 14
		.amdhsa_next_free_sgpr 26
		.amdhsa_accum_offset 16
		.amdhsa_reserve_vcc 1
		.amdhsa_reserve_flat_scratch 0
		.amdhsa_float_round_mode_32 0
		.amdhsa_float_round_mode_16_64 0
		.amdhsa_float_denorm_mode_32 3
		.amdhsa_float_denorm_mode_16_64 3
		.amdhsa_dx10_clamp 1
		.amdhsa_ieee_mode 1
		.amdhsa_fp16_overflow 0
		.amdhsa_tg_split 0
		.amdhsa_exception_fp_ieee_invalid_op 0
		.amdhsa_exception_fp_denorm_src 0
		.amdhsa_exception_fp_ieee_div_zero 0
		.amdhsa_exception_fp_ieee_overflow 0
		.amdhsa_exception_fp_ieee_underflow 0
		.amdhsa_exception_fp_ieee_inexact 0
		.amdhsa_exception_int_div_zero 0
	.end_amdhsa_kernel
	.section	.text._ZN9rocsparseL13ellmvn_kernelILj512El18rocsparse_bfloat16S1_ffEEvT0_S2_S2_NS_24const_host_device_scalarIT4_EEPKS2_PKT1_PKT2_S5_PT3_21rocsparse_index_base_b,"axG",@progbits,_ZN9rocsparseL13ellmvn_kernelILj512El18rocsparse_bfloat16S1_ffEEvT0_S2_S2_NS_24const_host_device_scalarIT4_EEPKS2_PKT1_PKT2_S5_PT3_21rocsparse_index_base_b,comdat
.Lfunc_end30:
	.size	_ZN9rocsparseL13ellmvn_kernelILj512El18rocsparse_bfloat16S1_ffEEvT0_S2_S2_NS_24const_host_device_scalarIT4_EEPKS2_PKT1_PKT2_S5_PT3_21rocsparse_index_base_b, .Lfunc_end30-_ZN9rocsparseL13ellmvn_kernelILj512El18rocsparse_bfloat16S1_ffEEvT0_S2_S2_NS_24const_host_device_scalarIT4_EEPKS2_PKT1_PKT2_S5_PT3_21rocsparse_index_base_b
                                        ; -- End function
	.section	.AMDGPU.csdata,"",@progbits
; Kernel info:
; codeLenInByte = 536
; NumSgprs: 30
; NumVgprs: 14
; NumAgprs: 0
; TotalNumVgprs: 14
; ScratchSize: 0
; MemoryBound: 0
; FloatMode: 240
; IeeeMode: 1
; LDSByteSize: 0 bytes/workgroup (compile time only)
; SGPRBlocks: 3
; VGPRBlocks: 1
; NumSGPRsForWavesPerEU: 30
; NumVGPRsForWavesPerEU: 14
; AccumOffset: 16
; Occupancy: 8
; WaveLimiterHint : 1
; COMPUTE_PGM_RSRC2:SCRATCH_EN: 0
; COMPUTE_PGM_RSRC2:USER_SGPR: 6
; COMPUTE_PGM_RSRC2:TRAP_HANDLER: 0
; COMPUTE_PGM_RSRC2:TGID_X_EN: 1
; COMPUTE_PGM_RSRC2:TGID_Y_EN: 0
; COMPUTE_PGM_RSRC2:TGID_Z_EN: 0
; COMPUTE_PGM_RSRC2:TIDIG_COMP_CNT: 0
; COMPUTE_PGM_RSRC3_GFX90A:ACCUM_OFFSET: 3
; COMPUTE_PGM_RSRC3_GFX90A:TG_SPLIT: 0
	.section	.text._ZN9rocsparseL13ellmvt_kernelILj1024El18rocsparse_bfloat16S1_ffEEv20rocsparse_operation_T0_S3_S3_NS_24const_host_device_scalarIT4_EEPKS3_PKT1_PKT2_PT3_21rocsparse_index_base_b,"axG",@progbits,_ZN9rocsparseL13ellmvt_kernelILj1024El18rocsparse_bfloat16S1_ffEEv20rocsparse_operation_T0_S3_S3_NS_24const_host_device_scalarIT4_EEPKS3_PKT1_PKT2_PT3_21rocsparse_index_base_b,comdat
	.globl	_ZN9rocsparseL13ellmvt_kernelILj1024El18rocsparse_bfloat16S1_ffEEv20rocsparse_operation_T0_S3_S3_NS_24const_host_device_scalarIT4_EEPKS3_PKT1_PKT2_PT3_21rocsparse_index_base_b ; -- Begin function _ZN9rocsparseL13ellmvt_kernelILj1024El18rocsparse_bfloat16S1_ffEEv20rocsparse_operation_T0_S3_S3_NS_24const_host_device_scalarIT4_EEPKS3_PKT1_PKT2_PT3_21rocsparse_index_base_b
	.p2align	8
	.type	_ZN9rocsparseL13ellmvt_kernelILj1024El18rocsparse_bfloat16S1_ffEEv20rocsparse_operation_T0_S3_S3_NS_24const_host_device_scalarIT4_EEPKS3_PKT1_PKT2_PT3_21rocsparse_index_base_b,@function
_ZN9rocsparseL13ellmvt_kernelILj1024El18rocsparse_bfloat16S1_ffEEv20rocsparse_operation_T0_S3_S3_NS_24const_host_device_scalarIT4_EEPKS3_PKT1_PKT2_PT3_21rocsparse_index_base_b: ; @_ZN9rocsparseL13ellmvt_kernelILj1024El18rocsparse_bfloat16S1_ffEEv20rocsparse_operation_T0_S3_S3_NS_24const_host_device_scalarIT4_EEPKS3_PKT1_PKT2_PT3_21rocsparse_index_base_b
; %bb.0:
	s_load_dwordx2 s[2:3], s[4:5], 0x48
	s_load_dwordx8 s[8:15], s[4:5], 0x8
	s_waitcnt lgkmcnt(0)
	s_bitcmp1_b32 s3, 0
	s_cselect_b64 s[0:1], -1, 0
	s_and_b64 vcc, exec, s[0:1]
	s_cbranch_vccnz .LBB31_2
; %bb.1:
	s_load_dword s14, s[14:15], 0x0
.LBB31_2:
	s_waitcnt lgkmcnt(0)
	v_cmp_eq_f32_e64 s[0:1], s14, 0
	s_and_b64 vcc, exec, s[0:1]
	s_cbranch_vccnz .LBB31_11
; %bb.3:
	v_lshl_or_b32 v0, s6, 10, v0
	v_mov_b32_e32 v1, 0
	v_cmp_gt_i64_e32 vcc, s[8:9], v[0:1]
	s_and_saveexec_b64 s[0:1], vcc
	s_cbranch_execz .LBB31_11
; %bb.4:
	v_cmp_lt_i64_e64 s[0:1], s[12:13], 1
	s_and_b64 vcc, exec, s[0:1]
	s_cbranch_vccnz .LBB31_11
; %bb.5:
	s_load_dwordx8 s[16:23], s[4:5], 0x28
	v_lshlrev_b64 v[2:3], 1, v[0:1]
	s_mov_b32 s0, 0
	s_mov_b64 s[4:5], 0
	v_mov_b32_e32 v6, s8
	s_waitcnt lgkmcnt(0)
	v_mov_b32_e32 v4, s21
	v_add_co_u32_e32 v2, vcc, s20, v2
	v_addc_co_u32_e32 v3, vcc, v4, v3, vcc
	global_load_ushort v2, v[2:3], off
	v_mov_b32_e32 v7, s0
	v_mov_b32_e32 v8, s17
                                        ; implicit-def: $sgpr6_sgpr7
	s_waitcnt vmcnt(0)
	v_lshlrev_b32_e32 v2, 16, v2
	v_mul_f32_e32 v9, s14, v2
	s_mov_b64 s[14:15], 0
	s_branch .LBB31_7
.LBB31_6:                               ;   in Loop: Header=BB31_7 Depth=1
	s_or_b64 exec, exec, s[0:1]
	s_and_b64 s[0:1], exec, s[6:7]
	s_or_b64 s[4:5], s[0:1], s[4:5]
	s_andn2_b64 exec, exec, s[4:5]
	s_cbranch_execz .LBB31_11
.LBB31_7:                               ; =>This Loop Header: Depth=1
                                        ;     Child Loop BB31_9 Depth 2
	s_mul_i32 s0, s15, s8
	s_mul_i32 s1, s14, s9
	s_add_i32 s3, s1, s0
	v_mad_u64_u32 v[2:3], s[0:1], s14, v6, v[0:1]
	v_add_u32_e32 v3, s3, v3
	v_lshlrev_b64 v[4:5], 3, v[2:3]
	v_add_co_u32_e32 v4, vcc, s16, v4
	v_addc_co_u32_e32 v5, vcc, v8, v5, vcc
	global_load_dwordx2 v[4:5], v[4:5], off glc slc
	s_or_b64 s[6:7], s[6:7], exec
	s_waitcnt vmcnt(0)
	v_subrev_co_u32_e32 v4, vcc, s2, v4
	v_subb_co_u32_e32 v5, vcc, v5, v7, vcc
	v_cmp_lt_i64_e32 vcc, -1, v[4:5]
	v_cmp_gt_i64_e64 s[0:1], s[10:11], v[4:5]
	s_and_b64 s[20:21], vcc, s[0:1]
	s_and_saveexec_b64 s[0:1], s[20:21]
	s_cbranch_execz .LBB31_6
; %bb.8:                                ;   in Loop: Header=BB31_7 Depth=1
	v_lshlrev_b64 v[2:3], 1, v[2:3]
	v_mov_b32_e32 v10, s19
	v_add_co_u32_e32 v2, vcc, s18, v2
	v_addc_co_u32_e32 v3, vcc, v10, v3, vcc
	v_lshlrev_b64 v[4:5], 2, v[4:5]
	v_mov_b32_e32 v10, s23
	global_load_ushort v11, v[2:3], off
	v_add_co_u32_e32 v2, vcc, s22, v4
	v_addc_co_u32_e32 v3, vcc, v10, v5, vcc
	global_load_dword v5, v[2:3], off
	s_mov_b64 s[20:21], 0
	s_waitcnt vmcnt(1)
	v_lshlrev_b32_e32 v4, 16, v11
	v_mul_f32_e32 v10, v9, v4
.LBB31_9:                               ;   Parent Loop BB31_7 Depth=1
                                        ; =>  This Inner Loop Header: Depth=2
	s_waitcnt vmcnt(0)
	v_add_f32_e32 v4, v5, v10
	global_atomic_cmpswap v4, v[2:3], v[4:5], off glc
	s_waitcnt vmcnt(0)
	v_cmp_eq_u32_e32 vcc, v4, v5
	s_or_b64 s[20:21], vcc, s[20:21]
	v_mov_b32_e32 v5, v4
	s_andn2_b64 exec, exec, s[20:21]
	s_cbranch_execnz .LBB31_9
; %bb.10:                               ;   in Loop: Header=BB31_7 Depth=1
	s_or_b64 exec, exec, s[20:21]
	s_add_u32 s14, s14, 1
	s_addc_u32 s15, s15, 0
	s_cmp_eq_u64 s[14:15], s[12:13]
	s_cselect_b64 s[20:21], -1, 0
	s_andn2_b64 s[6:7], s[6:7], exec
	s_and_b64 s[20:21], s[20:21], exec
	s_or_b64 s[6:7], s[6:7], s[20:21]
	s_branch .LBB31_6
.LBB31_11:
	s_endpgm
	.section	.rodata,"a",@progbits
	.p2align	6, 0x0
	.amdhsa_kernel _ZN9rocsparseL13ellmvt_kernelILj1024El18rocsparse_bfloat16S1_ffEEv20rocsparse_operation_T0_S3_S3_NS_24const_host_device_scalarIT4_EEPKS3_PKT1_PKT2_PT3_21rocsparse_index_base_b
		.amdhsa_group_segment_fixed_size 0
		.amdhsa_private_segment_fixed_size 0
		.amdhsa_kernarg_size 80
		.amdhsa_user_sgpr_count 6
		.amdhsa_user_sgpr_private_segment_buffer 1
		.amdhsa_user_sgpr_dispatch_ptr 0
		.amdhsa_user_sgpr_queue_ptr 0
		.amdhsa_user_sgpr_kernarg_segment_ptr 1
		.amdhsa_user_sgpr_dispatch_id 0
		.amdhsa_user_sgpr_flat_scratch_init 0
		.amdhsa_user_sgpr_kernarg_preload_length 0
		.amdhsa_user_sgpr_kernarg_preload_offset 0
		.amdhsa_user_sgpr_private_segment_size 0
		.amdhsa_uses_dynamic_stack 0
		.amdhsa_system_sgpr_private_segment_wavefront_offset 0
		.amdhsa_system_sgpr_workgroup_id_x 1
		.amdhsa_system_sgpr_workgroup_id_y 0
		.amdhsa_system_sgpr_workgroup_id_z 0
		.amdhsa_system_sgpr_workgroup_info 0
		.amdhsa_system_vgpr_workitem_id 0
		.amdhsa_next_free_vgpr 12
		.amdhsa_next_free_sgpr 24
		.amdhsa_accum_offset 12
		.amdhsa_reserve_vcc 1
		.amdhsa_reserve_flat_scratch 0
		.amdhsa_float_round_mode_32 0
		.amdhsa_float_round_mode_16_64 0
		.amdhsa_float_denorm_mode_32 3
		.amdhsa_float_denorm_mode_16_64 3
		.amdhsa_dx10_clamp 1
		.amdhsa_ieee_mode 1
		.amdhsa_fp16_overflow 0
		.amdhsa_tg_split 0
		.amdhsa_exception_fp_ieee_invalid_op 0
		.amdhsa_exception_fp_denorm_src 0
		.amdhsa_exception_fp_ieee_div_zero 0
		.amdhsa_exception_fp_ieee_overflow 0
		.amdhsa_exception_fp_ieee_underflow 0
		.amdhsa_exception_fp_ieee_inexact 0
		.amdhsa_exception_int_div_zero 0
	.end_amdhsa_kernel
	.section	.text._ZN9rocsparseL13ellmvt_kernelILj1024El18rocsparse_bfloat16S1_ffEEv20rocsparse_operation_T0_S3_S3_NS_24const_host_device_scalarIT4_EEPKS3_PKT1_PKT2_PT3_21rocsparse_index_base_b,"axG",@progbits,_ZN9rocsparseL13ellmvt_kernelILj1024El18rocsparse_bfloat16S1_ffEEv20rocsparse_operation_T0_S3_S3_NS_24const_host_device_scalarIT4_EEPKS3_PKT1_PKT2_PT3_21rocsparse_index_base_b,comdat
.Lfunc_end31:
	.size	_ZN9rocsparseL13ellmvt_kernelILj1024El18rocsparse_bfloat16S1_ffEEv20rocsparse_operation_T0_S3_S3_NS_24const_host_device_scalarIT4_EEPKS3_PKT1_PKT2_PT3_21rocsparse_index_base_b, .Lfunc_end31-_ZN9rocsparseL13ellmvt_kernelILj1024El18rocsparse_bfloat16S1_ffEEv20rocsparse_operation_T0_S3_S3_NS_24const_host_device_scalarIT4_EEPKS3_PKT1_PKT2_PT3_21rocsparse_index_base_b
                                        ; -- End function
	.section	.AMDGPU.csdata,"",@progbits
; Kernel info:
; codeLenInByte = 444
; NumSgprs: 28
; NumVgprs: 12
; NumAgprs: 0
; TotalNumVgprs: 12
; ScratchSize: 0
; MemoryBound: 0
; FloatMode: 240
; IeeeMode: 1
; LDSByteSize: 0 bytes/workgroup (compile time only)
; SGPRBlocks: 3
; VGPRBlocks: 1
; NumSGPRsForWavesPerEU: 28
; NumVGPRsForWavesPerEU: 12
; AccumOffset: 12
; Occupancy: 8
; WaveLimiterHint : 1
; COMPUTE_PGM_RSRC2:SCRATCH_EN: 0
; COMPUTE_PGM_RSRC2:USER_SGPR: 6
; COMPUTE_PGM_RSRC2:TRAP_HANDLER: 0
; COMPUTE_PGM_RSRC2:TGID_X_EN: 1
; COMPUTE_PGM_RSRC2:TGID_Y_EN: 0
; COMPUTE_PGM_RSRC2:TGID_Z_EN: 0
; COMPUTE_PGM_RSRC2:TIDIG_COMP_CNT: 0
; COMPUTE_PGM_RSRC3_GFX90A:ACCUM_OFFSET: 2
; COMPUTE_PGM_RSRC3_GFX90A:TG_SPLIT: 0
	.section	.text._ZN9rocsparseL13ellmvn_kernelILj512Eif21rocsparse_complex_numIfES2_S2_EEvT0_S3_S3_NS_24const_host_device_scalarIT4_EEPKS3_PKT1_PKT2_S6_PT3_21rocsparse_index_base_b,"axG",@progbits,_ZN9rocsparseL13ellmvn_kernelILj512Eif21rocsparse_complex_numIfES2_S2_EEvT0_S3_S3_NS_24const_host_device_scalarIT4_EEPKS3_PKT1_PKT2_S6_PT3_21rocsparse_index_base_b,comdat
	.globl	_ZN9rocsparseL13ellmvn_kernelILj512Eif21rocsparse_complex_numIfES2_S2_EEvT0_S3_S3_NS_24const_host_device_scalarIT4_EEPKS3_PKT1_PKT2_S6_PT3_21rocsparse_index_base_b ; -- Begin function _ZN9rocsparseL13ellmvn_kernelILj512Eif21rocsparse_complex_numIfES2_S2_EEvT0_S3_S3_NS_24const_host_device_scalarIT4_EEPKS3_PKT1_PKT2_S6_PT3_21rocsparse_index_base_b
	.p2align	8
	.type	_ZN9rocsparseL13ellmvn_kernelILj512Eif21rocsparse_complex_numIfES2_S2_EEvT0_S3_S3_NS_24const_host_device_scalarIT4_EEPKS3_PKT1_PKT2_S6_PT3_21rocsparse_index_base_b,@function
_ZN9rocsparseL13ellmvn_kernelILj512Eif21rocsparse_complex_numIfES2_S2_EEvT0_S3_S3_NS_24const_host_device_scalarIT4_EEPKS3_PKT1_PKT2_S6_PT3_21rocsparse_index_base_b: ; @_ZN9rocsparseL13ellmvn_kernelILj512Eif21rocsparse_complex_numIfES2_S2_EEvT0_S3_S3_NS_24const_host_device_scalarIT4_EEPKS3_PKT1_PKT2_S6_PT3_21rocsparse_index_base_b
; %bb.0:
	s_load_dwordx2 s[2:3], s[4:5], 0x40
	s_load_dwordx2 s[10:11], s[4:5], 0x10
	;; [unrolled: 1-line block ×3, first 2 shown]
	s_waitcnt lgkmcnt(0)
	s_bitcmp1_b32 s3, 0
	s_cselect_b64 s[0:1], -1, 0
	s_xor_b64 s[12:13], s[0:1], -1
	s_and_b64 vcc, exec, s[0:1]
	v_mov_b32_e32 v2, s10
	s_cbranch_vccnz .LBB32_2
; %bb.1:
	v_pk_mov_b32 v[2:3], s[10:11], s[10:11] op_sel:[0,1]
	flat_load_dword v2, v[2:3]
.LBB32_2:
	v_cndmask_b32_e64 v1, 0, 1, s[12:13]
	v_cmp_ne_u32_e64 s[0:1], 1, v1
	s_andn2_b64 vcc, exec, s[12:13]
	v_mov_b32_e32 v3, s11
	s_cbranch_vccz .LBB32_15
; %bb.3:
	s_and_b64 vcc, exec, s[0:1]
	v_mov_b32_e32 v4, s8
	s_cbranch_vccz .LBB32_16
.LBB32_4:
	s_and_b64 vcc, exec, s[0:1]
	v_mov_b32_e32 v5, s9
	s_cbranch_vccnz .LBB32_6
.LBB32_5:
	v_pk_mov_b32 v[6:7], s[8:9], s[8:9] op_sel:[0,1]
	flat_load_dword v5, v[6:7] offset:4
.LBB32_6:
	s_waitcnt vmcnt(0) lgkmcnt(0)
	v_and_b32_e32 v1, 0x7fffffff, v2
	v_cmp_eq_u32_e32 vcc, 0, v1
	v_cmp_eq_f32_e64 s[0:1], 0, v3
	s_and_b64 s[10:11], vcc, s[0:1]
	s_mov_b64 s[0:1], -1
	s_and_saveexec_b64 s[8:9], s[10:11]
; %bb.7:
	v_and_b32_e32 v1, 0x7fffffff, v5
	v_cmp_neq_f32_e32 vcc, 1.0, v4
	v_cmp_ne_u32_e64 s[0:1], 0, v1
	s_or_b64 s[0:1], vcc, s[0:1]
	s_orn2_b64 s[0:1], s[0:1], exec
; %bb.8:
	s_or_b64 exec, exec, s[8:9]
	s_and_saveexec_b64 s[8:9], s[0:1]
	s_cbranch_execz .LBB32_22
; %bb.9:
	s_load_dwordx4 s[8:11], s[4:5], 0x0
	v_lshl_or_b32 v0, s6, 9, v0
	s_waitcnt lgkmcnt(0)
	v_cmp_gt_i32_e32 vcc, s8, v0
	s_and_b64 exec, exec, vcc
	s_cbranch_execz .LBB32_22
; %bb.10:
	s_load_dwordx2 s[6:7], s[4:5], 0x38
	v_mov_b32_e32 v7, 0
	s_cmp_lt_i32 s10, 1
	v_ashrrev_i32_e32 v1, 31, v0
	v_mov_b32_e32 v6, v7
	s_cbranch_scc1 .LBB32_18
; %bb.11:
	s_load_dwordx4 s[12:15], s[4:5], 0x18
	s_load_dwordx2 s[16:17], s[4:5], 0x28
	s_ashr_i32 s1, s8, 31
	s_mov_b32 s0, s8
	v_mov_b32_e32 v6, 0
	v_lshlrev_b64 v[8:9], 2, v[0:1]
	s_lshl_b64 s[18:19], s[0:1], 2
	s_mov_b64 s[4:5], 0
	s_waitcnt lgkmcnt(0)
	v_mov_b32_e32 v14, s13
	v_mov_b32_e32 v11, 0
	v_bfrev_b32_e32 v12, 1
	v_mov_b32_e32 v7, v6
                                        ; implicit-def: $sgpr20_sgpr21
	s_branch .LBB32_13
.LBB32_12:                              ;   in Loop: Header=BB32_13 Depth=1
	s_or_b64 exec, exec, s[0:1]
	s_and_b64 s[0:1], exec, s[20:21]
	s_or_b64 s[4:5], s[0:1], s[4:5]
	s_andn2_b64 exec, exec, s[4:5]
	s_cbranch_execz .LBB32_17
.LBB32_13:                              ; =>This Inner Loop Header: Depth=1
	v_add_co_u32_e32 v16, vcc, s12, v8
	v_addc_co_u32_e32 v17, vcc, v14, v9, vcc
	global_load_dword v10, v[16:17], off glc slc
	s_or_b64 s[20:21], s[20:21], exec
	s_waitcnt vmcnt(0)
	v_subrev_u32_e32 v10, s2, v10
	v_cmp_lt_i32_e32 vcc, -1, v10
	v_cmp_gt_i32_e64 s[0:1], s9, v10
	s_and_b64 s[22:23], vcc, s[0:1]
	s_and_saveexec_b64 s[0:1], s[22:23]
	s_cbranch_execz .LBB32_12
; %bb.14:                               ;   in Loop: Header=BB32_13 Depth=1
	v_mov_b32_e32 v13, s15
	v_add_co_u32_e32 v16, vcc, s14, v8
	v_addc_co_u32_e32 v17, vcc, v13, v9, vcc
	v_lshlrev_b64 v[18:19], 3, v[10:11]
	v_mov_b32_e32 v10, s17
	v_add_co_u32_e32 v18, vcc, s16, v18
	v_addc_co_u32_e32 v19, vcc, v10, v19, vcc
	global_load_dword v16, v[16:17], off glc slc
	s_add_i32 s10, s10, -1
	global_load_dwordx2 v[18:19], v[18:19], off
	s_cmp_eq_u32 s10, 0
	v_mov_b32_e32 v17, v11
	s_cselect_b64 s[22:23], -1, 0
	v_mov_b32_e32 v10, s19
	v_add_co_u32_e32 v8, vcc, s18, v8
	s_andn2_b64 s[20:21], s[20:21], exec
	s_and_b64 s[22:23], s[22:23], exec
	v_addc_co_u32_e32 v9, vcc, v9, v10, vcc
	s_or_b64 s[20:21], s[20:21], s[22:23]
	s_waitcnt vmcnt(1)
	v_mov_b32_e32 v13, v16
	s_waitcnt vmcnt(0)
	v_pk_fma_f32 v[6:7], v[18:19], v[16:17], v[6:7] op_sel_hi:[0,1,1]
	v_pk_fma_f32 v[6:7], v[18:19], v[12:13], v[6:7] op_sel:[1,0,0]
	s_branch .LBB32_12
.LBB32_15:
	v_pk_mov_b32 v[4:5], s[10:11], s[10:11] op_sel:[0,1]
	flat_load_dword v3, v[4:5] offset:4
	s_and_b64 vcc, exec, s[0:1]
	v_mov_b32_e32 v4, s8
	s_cbranch_vccnz .LBB32_4
.LBB32_16:
	v_pk_mov_b32 v[4:5], s[8:9], s[8:9] op_sel:[0,1]
	flat_load_dword v4, v[4:5]
	s_and_b64 vcc, exec, s[0:1]
	v_mov_b32_e32 v5, s9
	s_cbranch_vccz .LBB32_5
	s_branch .LBB32_6
.LBB32_17:
	s_or_b64 exec, exec, s[4:5]
.LBB32_18:
	v_and_b32_e32 v8, 0x7fffffff, v4
	v_cmp_eq_u32_e32 vcc, 0, v8
	v_cmp_eq_f32_e64 s[0:1], 0, v5
	s_and_b64 s[0:1], vcc, s[0:1]
	s_and_saveexec_b64 s[2:3], s[0:1]
	s_xor_b64 s[0:1], exec, s[2:3]
	s_cbranch_execz .LBB32_20
; %bb.19:
	v_lshlrev_b64 v[0:1], 3, v[0:1]
	s_waitcnt lgkmcnt(0)
	v_mov_b32_e32 v5, s7
	v_add_co_u32_e32 v0, vcc, s6, v0
	v_xor_b32_e32 v4, 0x80000000, v3
	v_addc_co_u32_e32 v1, vcc, v5, v1, vcc
	v_mov_b32_e32 v5, v2
	v_pk_mul_f32 v[4:5], v[6:7], v[4:5] op_sel:[1,0]
	v_pk_fma_f32 v[2:3], v[2:3], v[6:7], v[4:5] op_sel_hi:[1,0,1]
	global_store_dwordx2 v[0:1], v[2:3], off glc slc
                                        ; implicit-def: $vgpr4
                                        ; implicit-def: $vgpr0
                                        ; implicit-def: $vgpr3
                                        ; implicit-def: $vgpr6_vgpr7
.LBB32_20:
	s_andn2_saveexec_b64 s[0:1], s[0:1]
	s_cbranch_execz .LBB32_22
; %bb.21:
	v_lshlrev_b64 v[0:1], 3, v[0:1]
	s_waitcnt lgkmcnt(0)
	v_mov_b32_e32 v8, s7
	v_add_co_u32_e32 v0, vcc, s6, v0
	v_addc_co_u32_e32 v1, vcc, v8, v1, vcc
	global_load_dwordx2 v[8:9], v[0:1], off glc slc
	v_xor_b32_e32 v10, 0x80000000, v3
	v_mov_b32_e32 v11, v2
	v_pk_mul_f32 v[10:11], v[6:7], v[10:11] op_sel:[1,0]
	v_pk_fma_f32 v[2:3], v[2:3], v[6:7], v[10:11] op_sel_hi:[1,0,1]
	v_xor_b32_e32 v12, 0x80000000, v5
	v_mov_b32_e32 v13, v4
	s_waitcnt vmcnt(0)
	v_pk_fma_f32 v[2:3], v[4:5], v[8:9], v[2:3] op_sel_hi:[1,0,1]
	v_pk_fma_f32 v[2:3], v[12:13], v[8:9], v[2:3] op_sel:[0,1,0]
	global_store_dwordx2 v[0:1], v[2:3], off glc slc
.LBB32_22:
	s_endpgm
	.section	.rodata,"a",@progbits
	.p2align	6, 0x0
	.amdhsa_kernel _ZN9rocsparseL13ellmvn_kernelILj512Eif21rocsparse_complex_numIfES2_S2_EEvT0_S3_S3_NS_24const_host_device_scalarIT4_EEPKS3_PKT1_PKT2_S6_PT3_21rocsparse_index_base_b
		.amdhsa_group_segment_fixed_size 0
		.amdhsa_private_segment_fixed_size 0
		.amdhsa_kernarg_size 72
		.amdhsa_user_sgpr_count 6
		.amdhsa_user_sgpr_private_segment_buffer 1
		.amdhsa_user_sgpr_dispatch_ptr 0
		.amdhsa_user_sgpr_queue_ptr 0
		.amdhsa_user_sgpr_kernarg_segment_ptr 1
		.amdhsa_user_sgpr_dispatch_id 0
		.amdhsa_user_sgpr_flat_scratch_init 0
		.amdhsa_user_sgpr_kernarg_preload_length 0
		.amdhsa_user_sgpr_kernarg_preload_offset 0
		.amdhsa_user_sgpr_private_segment_size 0
		.amdhsa_uses_dynamic_stack 0
		.amdhsa_system_sgpr_private_segment_wavefront_offset 0
		.amdhsa_system_sgpr_workgroup_id_x 1
		.amdhsa_system_sgpr_workgroup_id_y 0
		.amdhsa_system_sgpr_workgroup_id_z 0
		.amdhsa_system_sgpr_workgroup_info 0
		.amdhsa_system_vgpr_workitem_id 0
		.amdhsa_next_free_vgpr 20
		.amdhsa_next_free_sgpr 24
		.amdhsa_accum_offset 20
		.amdhsa_reserve_vcc 1
		.amdhsa_reserve_flat_scratch 0
		.amdhsa_float_round_mode_32 0
		.amdhsa_float_round_mode_16_64 0
		.amdhsa_float_denorm_mode_32 3
		.amdhsa_float_denorm_mode_16_64 3
		.amdhsa_dx10_clamp 1
		.amdhsa_ieee_mode 1
		.amdhsa_fp16_overflow 0
		.amdhsa_tg_split 0
		.amdhsa_exception_fp_ieee_invalid_op 0
		.amdhsa_exception_fp_denorm_src 0
		.amdhsa_exception_fp_ieee_div_zero 0
		.amdhsa_exception_fp_ieee_overflow 0
		.amdhsa_exception_fp_ieee_underflow 0
		.amdhsa_exception_fp_ieee_inexact 0
		.amdhsa_exception_int_div_zero 0
	.end_amdhsa_kernel
	.section	.text._ZN9rocsparseL13ellmvn_kernelILj512Eif21rocsparse_complex_numIfES2_S2_EEvT0_S3_S3_NS_24const_host_device_scalarIT4_EEPKS3_PKT1_PKT2_S6_PT3_21rocsparse_index_base_b,"axG",@progbits,_ZN9rocsparseL13ellmvn_kernelILj512Eif21rocsparse_complex_numIfES2_S2_EEvT0_S3_S3_NS_24const_host_device_scalarIT4_EEPKS3_PKT1_PKT2_S6_PT3_21rocsparse_index_base_b,comdat
.Lfunc_end32:
	.size	_ZN9rocsparseL13ellmvn_kernelILj512Eif21rocsparse_complex_numIfES2_S2_EEvT0_S3_S3_NS_24const_host_device_scalarIT4_EEPKS3_PKT1_PKT2_S6_PT3_21rocsparse_index_base_b, .Lfunc_end32-_ZN9rocsparseL13ellmvn_kernelILj512Eif21rocsparse_complex_numIfES2_S2_EEvT0_S3_S3_NS_24const_host_device_scalarIT4_EEPKS3_PKT1_PKT2_S6_PT3_21rocsparse_index_base_b
                                        ; -- End function
	.section	.AMDGPU.csdata,"",@progbits
; Kernel info:
; codeLenInByte = 804
; NumSgprs: 28
; NumVgprs: 20
; NumAgprs: 0
; TotalNumVgprs: 20
; ScratchSize: 0
; MemoryBound: 0
; FloatMode: 240
; IeeeMode: 1
; LDSByteSize: 0 bytes/workgroup (compile time only)
; SGPRBlocks: 3
; VGPRBlocks: 2
; NumSGPRsForWavesPerEU: 28
; NumVGPRsForWavesPerEU: 20
; AccumOffset: 20
; Occupancy: 8
; WaveLimiterHint : 1
; COMPUTE_PGM_RSRC2:SCRATCH_EN: 0
; COMPUTE_PGM_RSRC2:USER_SGPR: 6
; COMPUTE_PGM_RSRC2:TRAP_HANDLER: 0
; COMPUTE_PGM_RSRC2:TGID_X_EN: 1
; COMPUTE_PGM_RSRC2:TGID_Y_EN: 0
; COMPUTE_PGM_RSRC2:TGID_Z_EN: 0
; COMPUTE_PGM_RSRC2:TIDIG_COMP_CNT: 0
; COMPUTE_PGM_RSRC3_GFX90A:ACCUM_OFFSET: 4
; COMPUTE_PGM_RSRC3_GFX90A:TG_SPLIT: 0
	.section	.text._ZN9rocsparseL13ellmvt_kernelILj1024Eif21rocsparse_complex_numIfES2_S2_EEv20rocsparse_operation_T0_S4_S4_NS_24const_host_device_scalarIT4_EEPKS4_PKT1_PKT2_PT3_21rocsparse_index_base_b,"axG",@progbits,_ZN9rocsparseL13ellmvt_kernelILj1024Eif21rocsparse_complex_numIfES2_S2_EEv20rocsparse_operation_T0_S4_S4_NS_24const_host_device_scalarIT4_EEPKS4_PKT1_PKT2_PT3_21rocsparse_index_base_b,comdat
	.globl	_ZN9rocsparseL13ellmvt_kernelILj1024Eif21rocsparse_complex_numIfES2_S2_EEv20rocsparse_operation_T0_S4_S4_NS_24const_host_device_scalarIT4_EEPKS4_PKT1_PKT2_PT3_21rocsparse_index_base_b ; -- Begin function _ZN9rocsparseL13ellmvt_kernelILj1024Eif21rocsparse_complex_numIfES2_S2_EEv20rocsparse_operation_T0_S4_S4_NS_24const_host_device_scalarIT4_EEPKS4_PKT1_PKT2_PT3_21rocsparse_index_base_b
	.p2align	8
	.type	_ZN9rocsparseL13ellmvt_kernelILj1024Eif21rocsparse_complex_numIfES2_S2_EEv20rocsparse_operation_T0_S4_S4_NS_24const_host_device_scalarIT4_EEPKS4_PKT1_PKT2_PT3_21rocsparse_index_base_b,@function
_ZN9rocsparseL13ellmvt_kernelILj1024Eif21rocsparse_complex_numIfES2_S2_EEv20rocsparse_operation_T0_S4_S4_NS_24const_host_device_scalarIT4_EEPKS4_PKT1_PKT2_PT3_21rocsparse_index_base_b: ; @_ZN9rocsparseL13ellmvt_kernelILj1024Eif21rocsparse_complex_numIfES2_S2_EEv20rocsparse_operation_T0_S4_S4_NS_24const_host_device_scalarIT4_EEPKS4_PKT1_PKT2_PT3_21rocsparse_index_base_b
; %bb.0:
	s_load_dwordx2 s[2:3], s[4:5], 0x38
	s_load_dword s7, s[4:5], 0x14
	s_load_dwordx4 s[12:15], s[4:5], 0x4
	s_load_dwordx2 s[0:1], s[4:5], 0x10
	s_waitcnt lgkmcnt(0)
	s_bitcmp1_b32 s3, 0
	s_cselect_b64 s[10:11], -1, 0
	s_xor_b64 s[8:9], s[10:11], -1
	s_and_b64 vcc, exec, s[10:11]
	v_mov_b32_e32 v2, s15
	s_cbranch_vccnz .LBB33_2
; %bb.1:
	v_pk_mov_b32 v[2:3], s[0:1], s[0:1] op_sel:[0,1]
	flat_load_dword v2, v[2:3]
.LBB33_2:
	s_andn2_b64 vcc, exec, s[8:9]
	v_mov_b32_e32 v3, s7
	s_cbranch_vccnz .LBB33_4
; %bb.3:
	v_pk_mov_b32 v[4:5], s[0:1], s[0:1] op_sel:[0,1]
	flat_load_dword v3, v[4:5] offset:4
.LBB33_4:
	s_waitcnt vmcnt(0) lgkmcnt(0)
	v_cmp_neq_f32_e32 vcc, 0, v2
	v_cmp_neq_f32_e64 s[0:1], 0, v3
	s_or_b64 s[0:1], vcc, s[0:1]
	s_and_saveexec_b64 s[8:9], s[0:1]
	s_cbranch_execz .LBB33_15
; %bb.5:
	v_lshl_or_b32 v0, s6, 10, v0
	v_cmp_gt_i32_e32 vcc, s12, v0
	s_and_b64 exec, exec, vcc
	s_cbranch_execz .LBB33_15
; %bb.6:
	s_cmp_lt_i32 s14, 1
	s_cbranch_scc1 .LBB33_15
; %bb.7:
	s_load_dwordx8 s[4:11], s[4:5], 0x18
	v_ashrrev_i32_e32 v1, 31, v0
	v_lshlrev_b64 v[4:5], 3, v[0:1]
	s_mov_b32 s0, s12
	s_ashr_i32 s3, s12, 31
	s_waitcnt lgkmcnt(0)
	v_mov_b32_e32 v6, s9
	v_add_co_u32_e32 v4, vcc, s8, v4
	v_addc_co_u32_e32 v5, vcc, v6, v5, vcc
	global_load_dwordx2 v[4:5], v[4:5], off
	s_mov_b32 s12, 0
	s_mov_b64 s[8:9], 0
	v_mov_b32_e32 v8, s0
	v_mov_b32_e32 v9, s5
                                        ; implicit-def: $sgpr16_sgpr17
	s_waitcnt vmcnt(0)
	v_mul_f32_e64 v10, v5, -v3
	v_mul_f32_e32 v11, v2, v5
	v_fmac_f32_e32 v10, v2, v4
	v_fmac_f32_e32 v11, v3, v4
	v_mul_f32_e32 v12, 0x80000000, v11
	v_mul_f32_e32 v13, 0, v10
	v_mov_b32_e32 v3, 0
	s_branch .LBB33_9
.LBB33_8:                               ;   in Loop: Header=BB33_9 Depth=1
	s_or_b64 exec, exec, s[0:1]
	s_and_b64 s[0:1], exec, s[16:17]
	s_or_b64 s[8:9], s[0:1], s[8:9]
	s_andn2_b64 exec, exec, s[8:9]
	s_cbranch_execz .LBB33_15
.LBB33_9:                               ; =>This Loop Header: Depth=1
                                        ;     Child Loop BB33_11 Depth 2
                                        ;     Child Loop BB33_13 Depth 2
	v_mad_u64_u32 v[4:5], s[0:1], s12, v8, v[0:1]
	s_mul_i32 s0, s12, s3
	v_add_u32_e32 v5, s0, v5
	v_lshlrev_b64 v[4:5], 2, v[4:5]
	v_add_co_u32_e32 v6, vcc, s4, v4
	v_addc_co_u32_e32 v7, vcc, v9, v5, vcc
	global_load_dword v2, v[6:7], off glc slc
	s_or_b64 s[16:17], s[16:17], exec
	s_waitcnt vmcnt(0)
	v_subrev_u32_e32 v2, s2, v2
	v_cmp_lt_i32_e32 vcc, -1, v2
	v_cmp_gt_i32_e64 s[0:1], s13, v2
	s_and_b64 s[18:19], vcc, s[0:1]
	s_and_saveexec_b64 s[0:1], s[18:19]
	s_cbranch_execz .LBB33_8
; %bb.10:                               ;   in Loop: Header=BB33_9 Depth=1
	v_mov_b32_e32 v6, s7
	v_add_co_u32_e32 v4, vcc, s6, v4
	v_addc_co_u32_e32 v5, vcc, v6, v5, vcc
	global_load_dword v14, v[4:5], off glc slc
	v_lshlrev_b64 v[4:5], 3, v[2:3]
	v_mov_b32_e32 v2, s11
	v_add_co_u32_e32 v4, vcc, s10, v4
	v_addc_co_u32_e32 v5, vcc, v2, v5, vcc
	global_load_dword v7, v[4:5], off
	s_mov_b64 s[18:19], 0
	s_waitcnt vmcnt(1)
	v_fma_f32 v2, v10, v14, v12
.LBB33_11:                              ;   Parent Loop BB33_9 Depth=1
                                        ; =>  This Inner Loop Header: Depth=2
	s_waitcnt vmcnt(0)
	v_add_f32_e32 v6, v7, v2
	global_atomic_cmpswap v6, v[4:5], v[6:7], off glc
	s_waitcnt vmcnt(0)
	v_cmp_eq_u32_e32 vcc, v6, v7
	s_or_b64 s[18:19], vcc, s[18:19]
	v_mov_b32_e32 v7, v6
	s_andn2_b64 exec, exec, s[18:19]
	s_cbranch_execnz .LBB33_11
; %bb.12:                               ;   in Loop: Header=BB33_9 Depth=1
	s_or_b64 exec, exec, s[18:19]
	global_load_dword v7, v[4:5], off offset:4
	v_fma_f32 v2, v11, v14, v13
	s_mov_b64 s[18:19], 0
.LBB33_13:                              ;   Parent Loop BB33_9 Depth=1
                                        ; =>  This Inner Loop Header: Depth=2
	s_waitcnt vmcnt(0)
	v_add_f32_e32 v6, v7, v2
	global_atomic_cmpswap v6, v[4:5], v[6:7], off offset:4 glc
	s_waitcnt vmcnt(0)
	v_cmp_eq_u32_e32 vcc, v6, v7
	s_or_b64 s[18:19], vcc, s[18:19]
	v_mov_b32_e32 v7, v6
	s_andn2_b64 exec, exec, s[18:19]
	s_cbranch_execnz .LBB33_13
; %bb.14:                               ;   in Loop: Header=BB33_9 Depth=1
	s_or_b64 exec, exec, s[18:19]
	s_add_i32 s12, s12, 1
	s_cmp_eq_u32 s12, s14
	s_cselect_b64 s[18:19], -1, 0
	s_andn2_b64 s[16:17], s[16:17], exec
	s_and_b64 s[18:19], s[18:19], exec
	s_or_b64 s[16:17], s[16:17], s[18:19]
	s_branch .LBB33_8
.LBB33_15:
	s_endpgm
	.section	.rodata,"a",@progbits
	.p2align	6, 0x0
	.amdhsa_kernel _ZN9rocsparseL13ellmvt_kernelILj1024Eif21rocsparse_complex_numIfES2_S2_EEv20rocsparse_operation_T0_S4_S4_NS_24const_host_device_scalarIT4_EEPKS4_PKT1_PKT2_PT3_21rocsparse_index_base_b
		.amdhsa_group_segment_fixed_size 0
		.amdhsa_private_segment_fixed_size 0
		.amdhsa_kernarg_size 64
		.amdhsa_user_sgpr_count 6
		.amdhsa_user_sgpr_private_segment_buffer 1
		.amdhsa_user_sgpr_dispatch_ptr 0
		.amdhsa_user_sgpr_queue_ptr 0
		.amdhsa_user_sgpr_kernarg_segment_ptr 1
		.amdhsa_user_sgpr_dispatch_id 0
		.amdhsa_user_sgpr_flat_scratch_init 0
		.amdhsa_user_sgpr_kernarg_preload_length 0
		.amdhsa_user_sgpr_kernarg_preload_offset 0
		.amdhsa_user_sgpr_private_segment_size 0
		.amdhsa_uses_dynamic_stack 0
		.amdhsa_system_sgpr_private_segment_wavefront_offset 0
		.amdhsa_system_sgpr_workgroup_id_x 1
		.amdhsa_system_sgpr_workgroup_id_y 0
		.amdhsa_system_sgpr_workgroup_id_z 0
		.amdhsa_system_sgpr_workgroup_info 0
		.amdhsa_system_vgpr_workitem_id 0
		.amdhsa_next_free_vgpr 15
		.amdhsa_next_free_sgpr 20
		.amdhsa_accum_offset 16
		.amdhsa_reserve_vcc 1
		.amdhsa_reserve_flat_scratch 0
		.amdhsa_float_round_mode_32 0
		.amdhsa_float_round_mode_16_64 0
		.amdhsa_float_denorm_mode_32 3
		.amdhsa_float_denorm_mode_16_64 3
		.amdhsa_dx10_clamp 1
		.amdhsa_ieee_mode 1
		.amdhsa_fp16_overflow 0
		.amdhsa_tg_split 0
		.amdhsa_exception_fp_ieee_invalid_op 0
		.amdhsa_exception_fp_denorm_src 0
		.amdhsa_exception_fp_ieee_div_zero 0
		.amdhsa_exception_fp_ieee_overflow 0
		.amdhsa_exception_fp_ieee_underflow 0
		.amdhsa_exception_fp_ieee_inexact 0
		.amdhsa_exception_int_div_zero 0
	.end_amdhsa_kernel
	.section	.text._ZN9rocsparseL13ellmvt_kernelILj1024Eif21rocsparse_complex_numIfES2_S2_EEv20rocsparse_operation_T0_S4_S4_NS_24const_host_device_scalarIT4_EEPKS4_PKT1_PKT2_PT3_21rocsparse_index_base_b,"axG",@progbits,_ZN9rocsparseL13ellmvt_kernelILj1024Eif21rocsparse_complex_numIfES2_S2_EEv20rocsparse_operation_T0_S4_S4_NS_24const_host_device_scalarIT4_EEPKS4_PKT1_PKT2_PT3_21rocsparse_index_base_b,comdat
.Lfunc_end33:
	.size	_ZN9rocsparseL13ellmvt_kernelILj1024Eif21rocsparse_complex_numIfES2_S2_EEv20rocsparse_operation_T0_S4_S4_NS_24const_host_device_scalarIT4_EEPKS4_PKT1_PKT2_PT3_21rocsparse_index_base_b, .Lfunc_end33-_ZN9rocsparseL13ellmvt_kernelILj1024Eif21rocsparse_complex_numIfES2_S2_EEv20rocsparse_operation_T0_S4_S4_NS_24const_host_device_scalarIT4_EEPKS4_PKT1_PKT2_PT3_21rocsparse_index_base_b
                                        ; -- End function
	.section	.AMDGPU.csdata,"",@progbits
; Kernel info:
; codeLenInByte = 572
; NumSgprs: 24
; NumVgprs: 15
; NumAgprs: 0
; TotalNumVgprs: 15
; ScratchSize: 0
; MemoryBound: 0
; FloatMode: 240
; IeeeMode: 1
; LDSByteSize: 0 bytes/workgroup (compile time only)
; SGPRBlocks: 2
; VGPRBlocks: 1
; NumSGPRsForWavesPerEU: 24
; NumVGPRsForWavesPerEU: 15
; AccumOffset: 16
; Occupancy: 8
; WaveLimiterHint : 1
; COMPUTE_PGM_RSRC2:SCRATCH_EN: 0
; COMPUTE_PGM_RSRC2:USER_SGPR: 6
; COMPUTE_PGM_RSRC2:TRAP_HANDLER: 0
; COMPUTE_PGM_RSRC2:TGID_X_EN: 1
; COMPUTE_PGM_RSRC2:TGID_Y_EN: 0
; COMPUTE_PGM_RSRC2:TGID_Z_EN: 0
; COMPUTE_PGM_RSRC2:TIDIG_COMP_CNT: 0
; COMPUTE_PGM_RSRC3_GFX90A:ACCUM_OFFSET: 3
; COMPUTE_PGM_RSRC3_GFX90A:TG_SPLIT: 0
	.section	.text._ZN9rocsparseL13ellmvn_kernelILj512Elf21rocsparse_complex_numIfES2_S2_EEvT0_S3_S3_NS_24const_host_device_scalarIT4_EEPKS3_PKT1_PKT2_S6_PT3_21rocsparse_index_base_b,"axG",@progbits,_ZN9rocsparseL13ellmvn_kernelILj512Elf21rocsparse_complex_numIfES2_S2_EEvT0_S3_S3_NS_24const_host_device_scalarIT4_EEPKS3_PKT1_PKT2_S6_PT3_21rocsparse_index_base_b,comdat
	.globl	_ZN9rocsparseL13ellmvn_kernelILj512Elf21rocsparse_complex_numIfES2_S2_EEvT0_S3_S3_NS_24const_host_device_scalarIT4_EEPKS3_PKT1_PKT2_S6_PT3_21rocsparse_index_base_b ; -- Begin function _ZN9rocsparseL13ellmvn_kernelILj512Elf21rocsparse_complex_numIfES2_S2_EEvT0_S3_S3_NS_24const_host_device_scalarIT4_EEPKS3_PKT1_PKT2_S6_PT3_21rocsparse_index_base_b
	.p2align	8
	.type	_ZN9rocsparseL13ellmvn_kernelILj512Elf21rocsparse_complex_numIfES2_S2_EEvT0_S3_S3_NS_24const_host_device_scalarIT4_EEPKS3_PKT1_PKT2_S6_PT3_21rocsparse_index_base_b,@function
_ZN9rocsparseL13ellmvn_kernelILj512Elf21rocsparse_complex_numIfES2_S2_EEvT0_S3_S3_NS_24const_host_device_scalarIT4_EEPKS3_PKT1_PKT2_S6_PT3_21rocsparse_index_base_b: ; @_ZN9rocsparseL13ellmvn_kernelILj512Elf21rocsparse_complex_numIfES2_S2_EEvT0_S3_S3_NS_24const_host_device_scalarIT4_EEPKS3_PKT1_PKT2_S6_PT3_21rocsparse_index_base_b
; %bb.0:
	s_load_dwordx2 s[2:3], s[4:5], 0x48
	s_load_dwordx2 s[16:17], s[4:5], 0x38
	s_load_dwordx8 s[8:15], s[4:5], 0x0
	s_waitcnt lgkmcnt(0)
	s_bitcmp1_b32 s3, 0
	s_cselect_b64 s[0:1], -1, 0
	s_xor_b64 s[18:19], s[0:1], -1
	s_and_b64 vcc, exec, s[0:1]
	v_mov_b32_e32 v2, s14
	s_cbranch_vccnz .LBB34_2
; %bb.1:
	v_pk_mov_b32 v[2:3], s[14:15], s[14:15] op_sel:[0,1]
	flat_load_dword v2, v[2:3]
.LBB34_2:
	v_cndmask_b32_e64 v1, 0, 1, s[18:19]
	v_cmp_ne_u32_e64 s[0:1], 1, v1
	s_andn2_b64 vcc, exec, s[18:19]
	v_mov_b32_e32 v3, s15
	s_cbranch_vccz .LBB34_15
; %bb.3:
	s_and_b64 vcc, exec, s[0:1]
	v_mov_b32_e32 v4, s16
	s_cbranch_vccz .LBB34_16
.LBB34_4:
	s_and_b64 vcc, exec, s[0:1]
	v_mov_b32_e32 v5, s17
	s_cbranch_vccnz .LBB34_6
.LBB34_5:
	v_pk_mov_b32 v[6:7], s[16:17], s[16:17] op_sel:[0,1]
	flat_load_dword v5, v[6:7] offset:4
.LBB34_6:
	s_waitcnt vmcnt(0) lgkmcnt(0)
	v_and_b32_e32 v1, 0x7fffffff, v2
	v_cmp_eq_u32_e32 vcc, 0, v1
	v_cmp_eq_f32_e64 s[0:1], 0, v3
	s_and_b64 s[16:17], vcc, s[0:1]
	s_mov_b64 s[0:1], -1
	s_and_saveexec_b64 s[14:15], s[16:17]
; %bb.7:
	v_and_b32_e32 v1, 0x7fffffff, v5
	v_cmp_neq_f32_e32 vcc, 1.0, v4
	v_cmp_ne_u32_e64 s[0:1], 0, v1
	s_or_b64 s[0:1], vcc, s[0:1]
	s_orn2_b64 s[0:1], s[0:1], exec
; %bb.8:
	s_or_b64 exec, exec, s[14:15]
	s_and_saveexec_b64 s[14:15], s[0:1]
	s_cbranch_execz .LBB34_22
; %bb.9:
	v_lshl_or_b32 v14, s6, 9, v0
	v_mov_b32_e32 v15, 0
	v_cmp_gt_i64_e32 vcc, s[8:9], v[14:15]
	s_and_b64 exec, exec, vcc
	s_cbranch_execz .LBB34_22
; %bb.10:
	s_load_dwordx2 s[6:7], s[4:5], 0x40
	v_cmp_lt_i64_e64 s[14:15], s[12:13], 1
	s_mov_b32 s0, 0
	s_and_b64 vcc, exec, s[14:15]
	v_lshlrev_b64 v[0:1], 3, v[14:15]
	v_mov_b32_e32 v6, v15
	s_cbranch_vccnz .LBB34_18
; %bb.11:
	s_load_dwordx4 s[16:19], s[4:5], 0x20
	s_load_dwordx2 s[14:15], s[4:5], 0x30
	s_lshl_b64 s[4:5], s[8:9], 3
	v_mov_b32_e32 v18, s0
	v_mov_b32_e32 v13, 0
	s_waitcnt lgkmcnt(0)
	v_mov_b32_e32 v6, s17
	v_add_co_u32_e32 v8, vcc, s16, v0
	v_addc_co_u32_e32 v9, vcc, v6, v1, vcc
	v_lshlrev_b64 v[6:7], 2, v[14:15]
	v_mov_b32_e32 v11, s19
	v_add_co_u32_e32 v10, vcc, s18, v6
	v_mov_b32_e32 v6, 0
	v_addc_co_u32_e32 v11, vcc, v11, v7, vcc
	s_lshl_b64 s[16:17], s[8:9], 2
	s_mov_b64 s[8:9], 0
	v_bfrev_b32_e32 v14, 1
	v_mov_b32_e32 v7, v6
                                        ; implicit-def: $sgpr18_sgpr19
	s_branch .LBB34_13
.LBB34_12:                              ;   in Loop: Header=BB34_13 Depth=1
	s_or_b64 exec, exec, s[0:1]
	s_and_b64 s[0:1], exec, s[18:19]
	s_or_b64 s[8:9], s[0:1], s[8:9]
	v_mov_b32_e32 v15, v7
	s_andn2_b64 exec, exec, s[8:9]
	s_cbranch_execz .LBB34_17
.LBB34_13:                              ; =>This Inner Loop Header: Depth=1
	global_load_dwordx2 v[16:17], v[8:9], off glc slc
	s_or_b64 s[18:19], s[18:19], exec
	s_waitcnt vmcnt(0)
	v_subrev_co_u32_e32 v16, vcc, s2, v16
	v_subb_co_u32_e32 v17, vcc, v17, v18, vcc
	v_cmp_lt_i64_e32 vcc, -1, v[16:17]
	v_cmp_gt_i64_e64 s[0:1], s[10:11], v[16:17]
	s_and_b64 s[20:21], vcc, s[0:1]
	s_and_saveexec_b64 s[0:1], s[20:21]
	s_cbranch_execz .LBB34_12
; %bb.14:                               ;   in Loop: Header=BB34_13 Depth=1
	v_lshlrev_b64 v[16:17], 3, v[16:17]
	v_mov_b32_e32 v15, s15
	v_add_co_u32_e32 v16, vcc, s14, v16
	v_addc_co_u32_e32 v17, vcc, v15, v17, vcc
	global_load_dword v12, v[10:11], off glc slc
	s_add_u32 s12, s12, -1
	global_load_dwordx2 v[16:17], v[16:17], off
	s_addc_u32 s13, s13, -1
	v_mov_b32_e32 v15, s5
	v_add_co_u32_e32 v8, vcc, s4, v8
	s_cmp_eq_u64 s[12:13], 0
	v_addc_co_u32_e32 v9, vcc, v9, v15, vcc
	s_cselect_b64 s[20:21], -1, 0
	v_mov_b32_e32 v19, s17
	v_add_co_u32_e32 v10, vcc, s16, v10
	s_andn2_b64 s[18:19], s[18:19], exec
	s_and_b64 s[20:21], s[20:21], exec
	v_addc_co_u32_e32 v11, vcc, v11, v19, vcc
	s_or_b64 s[18:19], s[18:19], s[20:21]
	s_waitcnt vmcnt(1)
	v_mov_b32_e32 v15, v12
	s_waitcnt vmcnt(0)
	v_pk_fma_f32 v[6:7], v[16:17], v[12:13], v[6:7] op_sel_hi:[0,1,1]
	v_pk_fma_f32 v[6:7], v[16:17], v[14:15], v[6:7] op_sel:[1,0,0]
	s_branch .LBB34_12
.LBB34_15:
	v_pk_mov_b32 v[4:5], s[14:15], s[14:15] op_sel:[0,1]
	flat_load_dword v3, v[4:5] offset:4
	s_and_b64 vcc, exec, s[0:1]
	v_mov_b32_e32 v4, s16
	s_cbranch_vccnz .LBB34_4
.LBB34_16:
	v_pk_mov_b32 v[4:5], s[16:17], s[16:17] op_sel:[0,1]
	flat_load_dword v4, v[4:5]
	s_and_b64 vcc, exec, s[0:1]
	v_mov_b32_e32 v5, s17
	s_cbranch_vccz .LBB34_5
	s_branch .LBB34_6
.LBB34_17:
	s_or_b64 exec, exec, s[8:9]
.LBB34_18:
	v_and_b32_e32 v8, 0x7fffffff, v4
	v_cmp_eq_u32_e32 vcc, 0, v8
	v_cmp_eq_f32_e64 s[0:1], 0, v5
	v_mov_b32_e32 v7, v15
	s_and_b64 s[0:1], vcc, s[0:1]
	s_and_saveexec_b64 s[2:3], s[0:1]
	s_xor_b64 s[0:1], exec, s[2:3]
	s_cbranch_execz .LBB34_20
; %bb.19:
	s_waitcnt lgkmcnt(0)
	v_mov_b32_e32 v5, s7
	v_add_co_u32_e32 v0, vcc, s6, v0
	v_xor_b32_e32 v4, 0x80000000, v3
	v_addc_co_u32_e32 v1, vcc, v5, v1, vcc
	v_mov_b32_e32 v5, v2
	v_pk_mul_f32 v[4:5], v[6:7], v[4:5] op_sel:[1,0]
	v_pk_fma_f32 v[2:3], v[2:3], v[6:7], v[4:5] op_sel_hi:[1,0,1]
	global_store_dwordx2 v[0:1], v[2:3], off glc slc
                                        ; implicit-def: $vgpr4
                                        ; implicit-def: $vgpr0_vgpr1
                                        ; implicit-def: $vgpr3
                                        ; implicit-def: $vgpr6_vgpr7
.LBB34_20:
	s_andn2_saveexec_b64 s[0:1], s[0:1]
	s_cbranch_execz .LBB34_22
; %bb.21:
	s_waitcnt lgkmcnt(0)
	v_mov_b32_e32 v8, s7
	v_add_co_u32_e32 v0, vcc, s6, v0
	v_addc_co_u32_e32 v1, vcc, v8, v1, vcc
	global_load_dwordx2 v[8:9], v[0:1], off glc slc
	v_xor_b32_e32 v10, 0x80000000, v3
	v_mov_b32_e32 v11, v2
	v_pk_mul_f32 v[10:11], v[6:7], v[10:11] op_sel:[1,0]
	v_pk_fma_f32 v[2:3], v[2:3], v[6:7], v[10:11] op_sel_hi:[1,0,1]
	v_xor_b32_e32 v12, 0x80000000, v5
	v_mov_b32_e32 v13, v4
	s_waitcnt vmcnt(0)
	v_pk_fma_f32 v[2:3], v[4:5], v[8:9], v[2:3] op_sel_hi:[1,0,1]
	v_pk_fma_f32 v[2:3], v[12:13], v[8:9], v[2:3] op_sel:[0,1,0]
	global_store_dwordx2 v[0:1], v[2:3], off glc slc
.LBB34_22:
	s_endpgm
	.section	.rodata,"a",@progbits
	.p2align	6, 0x0
	.amdhsa_kernel _ZN9rocsparseL13ellmvn_kernelILj512Elf21rocsparse_complex_numIfES2_S2_EEvT0_S3_S3_NS_24const_host_device_scalarIT4_EEPKS3_PKT1_PKT2_S6_PT3_21rocsparse_index_base_b
		.amdhsa_group_segment_fixed_size 0
		.amdhsa_private_segment_fixed_size 0
		.amdhsa_kernarg_size 80
		.amdhsa_user_sgpr_count 6
		.amdhsa_user_sgpr_private_segment_buffer 1
		.amdhsa_user_sgpr_dispatch_ptr 0
		.amdhsa_user_sgpr_queue_ptr 0
		.amdhsa_user_sgpr_kernarg_segment_ptr 1
		.amdhsa_user_sgpr_dispatch_id 0
		.amdhsa_user_sgpr_flat_scratch_init 0
		.amdhsa_user_sgpr_kernarg_preload_length 0
		.amdhsa_user_sgpr_kernarg_preload_offset 0
		.amdhsa_user_sgpr_private_segment_size 0
		.amdhsa_uses_dynamic_stack 0
		.amdhsa_system_sgpr_private_segment_wavefront_offset 0
		.amdhsa_system_sgpr_workgroup_id_x 1
		.amdhsa_system_sgpr_workgroup_id_y 0
		.amdhsa_system_sgpr_workgroup_id_z 0
		.amdhsa_system_sgpr_workgroup_info 0
		.amdhsa_system_vgpr_workitem_id 0
		.amdhsa_next_free_vgpr 20
		.amdhsa_next_free_sgpr 22
		.amdhsa_accum_offset 20
		.amdhsa_reserve_vcc 1
		.amdhsa_reserve_flat_scratch 0
		.amdhsa_float_round_mode_32 0
		.amdhsa_float_round_mode_16_64 0
		.amdhsa_float_denorm_mode_32 3
		.amdhsa_float_denorm_mode_16_64 3
		.amdhsa_dx10_clamp 1
		.amdhsa_ieee_mode 1
		.amdhsa_fp16_overflow 0
		.amdhsa_tg_split 0
		.amdhsa_exception_fp_ieee_invalid_op 0
		.amdhsa_exception_fp_denorm_src 0
		.amdhsa_exception_fp_ieee_div_zero 0
		.amdhsa_exception_fp_ieee_overflow 0
		.amdhsa_exception_fp_ieee_underflow 0
		.amdhsa_exception_fp_ieee_inexact 0
		.amdhsa_exception_int_div_zero 0
	.end_amdhsa_kernel
	.section	.text._ZN9rocsparseL13ellmvn_kernelILj512Elf21rocsparse_complex_numIfES2_S2_EEvT0_S3_S3_NS_24const_host_device_scalarIT4_EEPKS3_PKT1_PKT2_S6_PT3_21rocsparse_index_base_b,"axG",@progbits,_ZN9rocsparseL13ellmvn_kernelILj512Elf21rocsparse_complex_numIfES2_S2_EEvT0_S3_S3_NS_24const_host_device_scalarIT4_EEPKS3_PKT1_PKT2_S6_PT3_21rocsparse_index_base_b,comdat
.Lfunc_end34:
	.size	_ZN9rocsparseL13ellmvn_kernelILj512Elf21rocsparse_complex_numIfES2_S2_EEvT0_S3_S3_NS_24const_host_device_scalarIT4_EEPKS3_PKT1_PKT2_S6_PT3_21rocsparse_index_base_b, .Lfunc_end34-_ZN9rocsparseL13ellmvn_kernelILj512Elf21rocsparse_complex_numIfES2_S2_EEvT0_S3_S3_NS_24const_host_device_scalarIT4_EEPKS3_PKT1_PKT2_S6_PT3_21rocsparse_index_base_b
                                        ; -- End function
	.section	.AMDGPU.csdata,"",@progbits
; Kernel info:
; codeLenInByte = 816
; NumSgprs: 26
; NumVgprs: 20
; NumAgprs: 0
; TotalNumVgprs: 20
; ScratchSize: 0
; MemoryBound: 0
; FloatMode: 240
; IeeeMode: 1
; LDSByteSize: 0 bytes/workgroup (compile time only)
; SGPRBlocks: 3
; VGPRBlocks: 2
; NumSGPRsForWavesPerEU: 26
; NumVGPRsForWavesPerEU: 20
; AccumOffset: 20
; Occupancy: 8
; WaveLimiterHint : 1
; COMPUTE_PGM_RSRC2:SCRATCH_EN: 0
; COMPUTE_PGM_RSRC2:USER_SGPR: 6
; COMPUTE_PGM_RSRC2:TRAP_HANDLER: 0
; COMPUTE_PGM_RSRC2:TGID_X_EN: 1
; COMPUTE_PGM_RSRC2:TGID_Y_EN: 0
; COMPUTE_PGM_RSRC2:TGID_Z_EN: 0
; COMPUTE_PGM_RSRC2:TIDIG_COMP_CNT: 0
; COMPUTE_PGM_RSRC3_GFX90A:ACCUM_OFFSET: 4
; COMPUTE_PGM_RSRC3_GFX90A:TG_SPLIT: 0
	.section	.text._ZN9rocsparseL13ellmvt_kernelILj1024Elf21rocsparse_complex_numIfES2_S2_EEv20rocsparse_operation_T0_S4_S4_NS_24const_host_device_scalarIT4_EEPKS4_PKT1_PKT2_PT3_21rocsparse_index_base_b,"axG",@progbits,_ZN9rocsparseL13ellmvt_kernelILj1024Elf21rocsparse_complex_numIfES2_S2_EEv20rocsparse_operation_T0_S4_S4_NS_24const_host_device_scalarIT4_EEPKS4_PKT1_PKT2_PT3_21rocsparse_index_base_b,comdat
	.globl	_ZN9rocsparseL13ellmvt_kernelILj1024Elf21rocsparse_complex_numIfES2_S2_EEv20rocsparse_operation_T0_S4_S4_NS_24const_host_device_scalarIT4_EEPKS4_PKT1_PKT2_PT3_21rocsparse_index_base_b ; -- Begin function _ZN9rocsparseL13ellmvt_kernelILj1024Elf21rocsparse_complex_numIfES2_S2_EEv20rocsparse_operation_T0_S4_S4_NS_24const_host_device_scalarIT4_EEPKS4_PKT1_PKT2_PT3_21rocsparse_index_base_b
	.p2align	8
	.type	_ZN9rocsparseL13ellmvt_kernelILj1024Elf21rocsparse_complex_numIfES2_S2_EEv20rocsparse_operation_T0_S4_S4_NS_24const_host_device_scalarIT4_EEPKS4_PKT1_PKT2_PT3_21rocsparse_index_base_b,@function
_ZN9rocsparseL13ellmvt_kernelILj1024Elf21rocsparse_complex_numIfES2_S2_EEv20rocsparse_operation_T0_S4_S4_NS_24const_host_device_scalarIT4_EEPKS4_PKT1_PKT2_PT3_21rocsparse_index_base_b: ; @_ZN9rocsparseL13ellmvt_kernelILj1024Elf21rocsparse_complex_numIfES2_S2_EEv20rocsparse_operation_T0_S4_S4_NS_24const_host_device_scalarIT4_EEPKS4_PKT1_PKT2_PT3_21rocsparse_index_base_b
; %bb.0:
	s_load_dwordx2 s[2:3], s[4:5], 0x48
	s_load_dwordx2 s[0:1], s[4:5], 0x20
	s_load_dwordx8 s[8:15], s[4:5], 0x8
	s_waitcnt lgkmcnt(0)
	s_bitcmp1_b32 s3, 0
	s_cselect_b64 s[18:19], -1, 0
	s_xor_b64 s[16:17], s[18:19], -1
	s_and_b64 vcc, exec, s[18:19]
	v_mov_b32_e32 v2, s0
	s_cbranch_vccnz .LBB35_2
; %bb.1:
	v_pk_mov_b32 v[2:3], s[14:15], s[14:15] op_sel:[0,1]
	flat_load_dword v2, v[2:3]
.LBB35_2:
	s_andn2_b64 vcc, exec, s[16:17]
	v_mov_b32_e32 v3, s1
	s_cbranch_vccnz .LBB35_4
; %bb.3:
	v_pk_mov_b32 v[4:5], s[14:15], s[14:15] op_sel:[0,1]
	flat_load_dword v3, v[4:5] offset:4
.LBB35_4:
	s_waitcnt vmcnt(0) lgkmcnt(0)
	v_cmp_neq_f32_e32 vcc, 0, v2
	v_cmp_neq_f32_e64 s[0:1], 0, v3
	s_or_b64 s[0:1], vcc, s[0:1]
	s_and_saveexec_b64 s[14:15], s[0:1]
	s_cbranch_execz .LBB35_15
; %bb.5:
	v_lshl_or_b32 v0, s6, 10, v0
	v_mov_b32_e32 v1, 0
	v_cmp_gt_i64_e32 vcc, s[8:9], v[0:1]
	s_and_b64 exec, exec, vcc
	s_cbranch_execz .LBB35_15
; %bb.6:
	v_cmp_lt_i64_e64 s[0:1], s[12:13], 1
	s_and_b64 vcc, exec, s[0:1]
	s_cbranch_vccnz .LBB35_15
; %bb.7:
	s_load_dwordx8 s[16:23], s[4:5], 0x28
	v_lshlrev_b64 v[4:5], 3, v[0:1]
	s_mov_b32 s0, 0
	s_mov_b64 s[4:5], 0
	v_mov_b32_e32 v7, s0
	s_waitcnt lgkmcnt(0)
	v_mov_b32_e32 v6, s21
	v_add_co_u32_e32 v4, vcc, s20, v4
	v_addc_co_u32_e32 v5, vcc, v6, v5, vcc
	global_load_dwordx2 v[4:5], v[4:5], off
	v_mov_b32_e32 v6, s8
	v_mov_b32_e32 v8, s17
	s_mov_b64 s[14:15], 0
                                        ; implicit-def: $sgpr6_sgpr7
	s_waitcnt vmcnt(0)
	v_mul_f32_e64 v9, v5, -v3
	v_mul_f32_e32 v10, v2, v5
	v_fmac_f32_e32 v9, v2, v4
	v_fmac_f32_e32 v10, v3, v4
	v_mul_f32_e32 v11, 0x80000000, v10
	v_mul_f32_e32 v12, 0, v9
	s_branch .LBB35_9
.LBB35_8:                               ;   in Loop: Header=BB35_9 Depth=1
	s_or_b64 exec, exec, s[0:1]
	s_and_b64 s[0:1], exec, s[6:7]
	s_or_b64 s[4:5], s[0:1], s[4:5]
	s_andn2_b64 exec, exec, s[4:5]
	s_cbranch_execz .LBB35_15
.LBB35_9:                               ; =>This Loop Header: Depth=1
                                        ;     Child Loop BB35_11 Depth 2
                                        ;     Child Loop BB35_13 Depth 2
	s_mul_i32 s0, s15, s8
	s_mul_i32 s1, s14, s9
	s_add_i32 s3, s1, s0
	v_mad_u64_u32 v[2:3], s[0:1], s14, v6, v[0:1]
	v_add_u32_e32 v3, s3, v3
	v_lshlrev_b64 v[4:5], 3, v[2:3]
	v_add_co_u32_e32 v4, vcc, s16, v4
	v_addc_co_u32_e32 v5, vcc, v8, v5, vcc
	global_load_dwordx2 v[4:5], v[4:5], off glc slc
	s_or_b64 s[6:7], s[6:7], exec
	s_waitcnt vmcnt(0)
	v_subrev_co_u32_e32 v4, vcc, s2, v4
	v_subb_co_u32_e32 v5, vcc, v5, v7, vcc
	v_cmp_lt_i64_e32 vcc, -1, v[4:5]
	v_cmp_gt_i64_e64 s[0:1], s[10:11], v[4:5]
	s_and_b64 s[20:21], vcc, s[0:1]
	s_and_saveexec_b64 s[0:1], s[20:21]
	s_cbranch_execz .LBB35_8
; %bb.10:                               ;   in Loop: Header=BB35_9 Depth=1
	v_lshlrev_b64 v[2:3], 2, v[2:3]
	v_mov_b32_e32 v13, s19
	v_add_co_u32_e32 v2, vcc, s18, v2
	v_addc_co_u32_e32 v3, vcc, v13, v3, vcc
	global_load_dword v13, v[2:3], off glc slc
	v_lshlrev_b64 v[2:3], 3, v[4:5]
	v_mov_b32_e32 v4, s23
	v_add_co_u32_e32 v2, vcc, s22, v2
	v_addc_co_u32_e32 v3, vcc, v4, v3, vcc
	global_load_dword v5, v[2:3], off
	s_mov_b64 s[20:21], 0
	s_waitcnt vmcnt(1)
	v_fma_f32 v14, v9, v13, v11
.LBB35_11:                              ;   Parent Loop BB35_9 Depth=1
                                        ; =>  This Inner Loop Header: Depth=2
	s_waitcnt vmcnt(0)
	v_add_f32_e32 v4, v5, v14
	global_atomic_cmpswap v4, v[2:3], v[4:5], off glc
	s_waitcnt vmcnt(0)
	v_cmp_eq_u32_e32 vcc, v4, v5
	s_or_b64 s[20:21], vcc, s[20:21]
	v_mov_b32_e32 v5, v4
	s_andn2_b64 exec, exec, s[20:21]
	s_cbranch_execnz .LBB35_11
; %bb.12:                               ;   in Loop: Header=BB35_9 Depth=1
	s_or_b64 exec, exec, s[20:21]
	global_load_dword v5, v[2:3], off offset:4
	v_fma_f32 v13, v10, v13, v12
	s_mov_b64 s[20:21], 0
.LBB35_13:                              ;   Parent Loop BB35_9 Depth=1
                                        ; =>  This Inner Loop Header: Depth=2
	s_waitcnt vmcnt(0)
	v_add_f32_e32 v4, v5, v13
	global_atomic_cmpswap v4, v[2:3], v[4:5], off offset:4 glc
	s_waitcnt vmcnt(0)
	v_cmp_eq_u32_e32 vcc, v4, v5
	s_or_b64 s[20:21], vcc, s[20:21]
	v_mov_b32_e32 v5, v4
	s_andn2_b64 exec, exec, s[20:21]
	s_cbranch_execnz .LBB35_13
; %bb.14:                               ;   in Loop: Header=BB35_9 Depth=1
	s_or_b64 exec, exec, s[20:21]
	s_add_u32 s14, s14, 1
	s_addc_u32 s15, s15, 0
	s_cmp_eq_u64 s[14:15], s[12:13]
	s_cselect_b64 s[20:21], -1, 0
	s_andn2_b64 s[6:7], s[6:7], exec
	s_and_b64 s[20:21], s[20:21], exec
	s_or_b64 s[6:7], s[6:7], s[20:21]
	s_branch .LBB35_8
.LBB35_15:
	s_endpgm
	.section	.rodata,"a",@progbits
	.p2align	6, 0x0
	.amdhsa_kernel _ZN9rocsparseL13ellmvt_kernelILj1024Elf21rocsparse_complex_numIfES2_S2_EEv20rocsparse_operation_T0_S4_S4_NS_24const_host_device_scalarIT4_EEPKS4_PKT1_PKT2_PT3_21rocsparse_index_base_b
		.amdhsa_group_segment_fixed_size 0
		.amdhsa_private_segment_fixed_size 0
		.amdhsa_kernarg_size 80
		.amdhsa_user_sgpr_count 6
		.amdhsa_user_sgpr_private_segment_buffer 1
		.amdhsa_user_sgpr_dispatch_ptr 0
		.amdhsa_user_sgpr_queue_ptr 0
		.amdhsa_user_sgpr_kernarg_segment_ptr 1
		.amdhsa_user_sgpr_dispatch_id 0
		.amdhsa_user_sgpr_flat_scratch_init 0
		.amdhsa_user_sgpr_kernarg_preload_length 0
		.amdhsa_user_sgpr_kernarg_preload_offset 0
		.amdhsa_user_sgpr_private_segment_size 0
		.amdhsa_uses_dynamic_stack 0
		.amdhsa_system_sgpr_private_segment_wavefront_offset 0
		.amdhsa_system_sgpr_workgroup_id_x 1
		.amdhsa_system_sgpr_workgroup_id_y 0
		.amdhsa_system_sgpr_workgroup_id_z 0
		.amdhsa_system_sgpr_workgroup_info 0
		.amdhsa_system_vgpr_workitem_id 0
		.amdhsa_next_free_vgpr 15
		.amdhsa_next_free_sgpr 24
		.amdhsa_accum_offset 16
		.amdhsa_reserve_vcc 1
		.amdhsa_reserve_flat_scratch 0
		.amdhsa_float_round_mode_32 0
		.amdhsa_float_round_mode_16_64 0
		.amdhsa_float_denorm_mode_32 3
		.amdhsa_float_denorm_mode_16_64 3
		.amdhsa_dx10_clamp 1
		.amdhsa_ieee_mode 1
		.amdhsa_fp16_overflow 0
		.amdhsa_tg_split 0
		.amdhsa_exception_fp_ieee_invalid_op 0
		.amdhsa_exception_fp_denorm_src 0
		.amdhsa_exception_fp_ieee_div_zero 0
		.amdhsa_exception_fp_ieee_overflow 0
		.amdhsa_exception_fp_ieee_underflow 0
		.amdhsa_exception_fp_ieee_inexact 0
		.amdhsa_exception_int_div_zero 0
	.end_amdhsa_kernel
	.section	.text._ZN9rocsparseL13ellmvt_kernelILj1024Elf21rocsparse_complex_numIfES2_S2_EEv20rocsparse_operation_T0_S4_S4_NS_24const_host_device_scalarIT4_EEPKS4_PKT1_PKT2_PT3_21rocsparse_index_base_b,"axG",@progbits,_ZN9rocsparseL13ellmvt_kernelILj1024Elf21rocsparse_complex_numIfES2_S2_EEv20rocsparse_operation_T0_S4_S4_NS_24const_host_device_scalarIT4_EEPKS4_PKT1_PKT2_PT3_21rocsparse_index_base_b,comdat
.Lfunc_end35:
	.size	_ZN9rocsparseL13ellmvt_kernelILj1024Elf21rocsparse_complex_numIfES2_S2_EEv20rocsparse_operation_T0_S4_S4_NS_24const_host_device_scalarIT4_EEPKS4_PKT1_PKT2_PT3_21rocsparse_index_base_b, .Lfunc_end35-_ZN9rocsparseL13ellmvt_kernelILj1024Elf21rocsparse_complex_numIfES2_S2_EEv20rocsparse_operation_T0_S4_S4_NS_24const_host_device_scalarIT4_EEPKS4_PKT1_PKT2_PT3_21rocsparse_index_base_b
                                        ; -- End function
	.section	.AMDGPU.csdata,"",@progbits
; Kernel info:
; codeLenInByte = 592
; NumSgprs: 28
; NumVgprs: 15
; NumAgprs: 0
; TotalNumVgprs: 15
; ScratchSize: 0
; MemoryBound: 0
; FloatMode: 240
; IeeeMode: 1
; LDSByteSize: 0 bytes/workgroup (compile time only)
; SGPRBlocks: 3
; VGPRBlocks: 1
; NumSGPRsForWavesPerEU: 28
; NumVGPRsForWavesPerEU: 15
; AccumOffset: 16
; Occupancy: 8
; WaveLimiterHint : 1
; COMPUTE_PGM_RSRC2:SCRATCH_EN: 0
; COMPUTE_PGM_RSRC2:USER_SGPR: 6
; COMPUTE_PGM_RSRC2:TRAP_HANDLER: 0
; COMPUTE_PGM_RSRC2:TGID_X_EN: 1
; COMPUTE_PGM_RSRC2:TGID_Y_EN: 0
; COMPUTE_PGM_RSRC2:TGID_Z_EN: 0
; COMPUTE_PGM_RSRC2:TIDIG_COMP_CNT: 0
; COMPUTE_PGM_RSRC3_GFX90A:ACCUM_OFFSET: 3
; COMPUTE_PGM_RSRC3_GFX90A:TG_SPLIT: 0
	.section	.text._ZN9rocsparseL13ellmvn_kernelILj512Eid21rocsparse_complex_numIdES2_S2_EEvT0_S3_S3_NS_24const_host_device_scalarIT4_EEPKS3_PKT1_PKT2_S6_PT3_21rocsparse_index_base_b,"axG",@progbits,_ZN9rocsparseL13ellmvn_kernelILj512Eid21rocsparse_complex_numIdES2_S2_EEvT0_S3_S3_NS_24const_host_device_scalarIT4_EEPKS3_PKT1_PKT2_S6_PT3_21rocsparse_index_base_b,comdat
	.globl	_ZN9rocsparseL13ellmvn_kernelILj512Eid21rocsparse_complex_numIdES2_S2_EEvT0_S3_S3_NS_24const_host_device_scalarIT4_EEPKS3_PKT1_PKT2_S6_PT3_21rocsparse_index_base_b ; -- Begin function _ZN9rocsparseL13ellmvn_kernelILj512Eid21rocsparse_complex_numIdES2_S2_EEvT0_S3_S3_NS_24const_host_device_scalarIT4_EEPKS3_PKT1_PKT2_S6_PT3_21rocsparse_index_base_b
	.p2align	8
	.type	_ZN9rocsparseL13ellmvn_kernelILj512Eid21rocsparse_complex_numIdES2_S2_EEvT0_S3_S3_NS_24const_host_device_scalarIT4_EEPKS3_PKT1_PKT2_S6_PT3_21rocsparse_index_base_b,@function
_ZN9rocsparseL13ellmvn_kernelILj512Eid21rocsparse_complex_numIdES2_S2_EEvT0_S3_S3_NS_24const_host_device_scalarIT4_EEPKS3_PKT1_PKT2_S6_PT3_21rocsparse_index_base_b: ; @_ZN9rocsparseL13ellmvn_kernelILj512Eid21rocsparse_complex_numIdES2_S2_EEvT0_S3_S3_NS_24const_host_device_scalarIT4_EEPKS3_PKT1_PKT2_S6_PT3_21rocsparse_index_base_b
; %bb.0:
	s_load_dwordx2 s[2:3], s[6:7], 0x50
	s_load_dwordx4 s[16:19], s[6:7], 0x10
	s_load_dwordx4 s[12:15], s[6:7], 0x38
	s_mov_b64 s[10:11], src_shared_base
	s_load_dwordx2 s[4:5], s[4:5], 0x4
	s_waitcnt lgkmcnt(0)
	s_bitcmp1_b32 s3, 0
	s_cselect_b64 s[0:1], -1, 0
	s_and_b64 vcc, s[0:1], exec
	s_cselect_b32 s3, s11, s17
	s_lshr_b32 s4, s4, 16
	v_and_b32_e32 v8, 0x3ff, v0
	s_mul_i32 s4, s4, s5
	v_mul_lo_u32 v1, s4, v8
	v_bfe_u32 v2, v0, 10, 10
	v_mad_u32_u24 v1, v2, s5, v1
	v_bfe_u32 v0, v0, 20, 10
	v_add_lshl_u32 v4, v1, v0, 3
	v_mov_b32_e32 v5, s16
	v_add_u32_e32 v6, 0x1000, v4
	v_pk_mov_b32 v[0:1], s[16:17], s[16:17] op_sel:[0,1]
	v_pk_mov_b32 v[2:3], s[12:13], s[12:13] op_sel:[0,1]
	ds_write2st64_b64 v4, v[2:3], v[0:1] offset1:8
	v_cndmask_b32_e64 v0, v5, v6, s[0:1]
	v_mov_b32_e32 v1, s3
	flat_load_dwordx2 v[0:1], v[0:1]
	s_xor_b64 s[4:5], s[0:1], -1
	v_pk_mov_b32 v[2:3], s[18:19], s[18:19] op_sel:[0,1]
	s_cbranch_vccnz .LBB36_2
; %bb.1:
	v_pk_mov_b32 v[2:3], s[16:17], s[16:17] op_sel:[0,1]
	flat_load_dwordx2 v[2:3], v[2:3] offset:8
.LBB36_2:
	s_and_b64 s[16:17], s[0:1], exec
	s_cselect_b32 s3, s11, s13
	v_mov_b32_e32 v5, s12
	v_cndmask_b32_e64 v4, v5, v4, s[0:1]
	v_mov_b32_e32 v5, s3
	flat_load_dwordx2 v[4:5], v[4:5]
	s_andn2_b64 vcc, exec, s[4:5]
	v_pk_mov_b32 v[6:7], s[14:15], s[14:15] op_sel:[0,1]
	s_cbranch_vccnz .LBB36_4
; %bb.3:
	v_pk_mov_b32 v[6:7], s[12:13], s[12:13] op_sel:[0,1]
	flat_load_dwordx2 v[6:7], v[6:7] offset:8
.LBB36_4:
	s_waitcnt vmcnt(0) lgkmcnt(0)
	v_cmp_eq_f64_e32 vcc, 0, v[0:1]
	v_cmp_eq_f64_e64 s[0:1], 0, v[2:3]
	s_and_b64 s[10:11], vcc, s[0:1]
	s_mov_b64 s[0:1], -1
	s_and_saveexec_b64 s[4:5], s[10:11]
; %bb.5:
	v_cmp_neq_f64_e32 vcc, 1.0, v[4:5]
	v_cmp_neq_f64_e64 s[0:1], 0, v[6:7]
	s_or_b64 s[0:1], vcc, s[0:1]
	s_orn2_b64 s[0:1], s[0:1], exec
; %bb.6:
	s_or_b64 exec, exec, s[4:5]
	s_and_saveexec_b64 s[4:5], s[0:1]
	s_cbranch_execz .LBB36_18
; %bb.7:
	s_load_dwordx4 s[12:15], s[6:7], 0x0
	v_lshl_or_b32 v8, s8, 9, v8
	s_waitcnt lgkmcnt(0)
	v_cmp_gt_i32_e32 vcc, s12, v8
	s_and_b64 exec, exec, vcc
	s_cbranch_execz .LBB36_18
; %bb.8:
	s_load_dwordx2 s[4:5], s[6:7], 0x48
	v_pk_mov_b32 v[10:11], 0, 0
	s_cmp_lt_i32 s14, 1
	v_ashrrev_i32_e32 v9, 31, v8
	v_pk_mov_b32 v[12:13], v[10:11], v[10:11] op_sel:[0,1]
	s_cbranch_scc1 .LBB36_14
; %bb.9:
	s_load_dwordx4 s[16:19], s[6:7], 0x20
	s_load_dwordx2 s[8:9], s[6:7], 0x30
	v_lshlrev_b64 v[10:11], 2, v[8:9]
	s_ashr_i32 s1, s12, 31
	s_mov_b32 s0, s12
	s_waitcnt lgkmcnt(0)
	v_mov_b32_e32 v12, s17
	v_add_co_u32_e32 v14, vcc, s16, v10
	v_addc_co_u32_e32 v15, vcc, v12, v11, vcc
	v_lshlrev_b64 v[10:11], 3, v[8:9]
	v_mov_b32_e32 v12, s19
	v_add_co_u32_e32 v16, vcc, s18, v10
	v_addc_co_u32_e32 v17, vcc, v12, v11, vcc
	v_pk_mov_b32 v[10:11], 0, 0
	s_lshl_b64 s[6:7], s[0:1], 2
	s_lshl_b64 s[16:17], s[0:1], 3
	s_mov_b64 s[10:11], 0
	v_mov_b32_e32 v19, 0
	v_pk_mov_b32 v[12:13], v[10:11], v[10:11] op_sel:[0,1]
                                        ; implicit-def: $sgpr18_sgpr19
	s_branch .LBB36_11
.LBB36_10:                              ;   in Loop: Header=BB36_11 Depth=1
	s_or_b64 exec, exec, s[0:1]
	s_and_b64 s[0:1], exec, s[18:19]
	s_or_b64 s[10:11], s[0:1], s[10:11]
	s_andn2_b64 exec, exec, s[10:11]
	s_cbranch_execz .LBB36_13
.LBB36_11:                              ; =>This Inner Loop Header: Depth=1
	global_load_dword v18, v[14:15], off glc slc
	s_or_b64 s[18:19], s[18:19], exec
	s_waitcnt vmcnt(0)
	v_subrev_u32_e32 v18, s2, v18
	v_cmp_lt_i32_e32 vcc, -1, v18
	v_cmp_gt_i32_e64 s[0:1], s13, v18
	s_and_b64 s[20:21], vcc, s[0:1]
	s_and_saveexec_b64 s[0:1], s[20:21]
	s_cbranch_execz .LBB36_10
; %bb.12:                               ;   in Loop: Header=BB36_11 Depth=1
	v_lshlrev_b64 v[20:21], 4, v[18:19]
	v_mov_b32_e32 v18, s9
	v_add_co_u32_e32 v20, vcc, s8, v20
	v_addc_co_u32_e32 v21, vcc, v18, v21, vcc
	global_load_dwordx2 v[24:25], v[16:17], off glc slc
	s_add_i32 s14, s14, -1
	global_load_dwordx4 v[20:23], v[20:21], off
	v_mov_b32_e32 v18, s7
	v_add_co_u32_e32 v14, vcc, s6, v14
	s_cmp_eq_u32 s14, 0
	v_addc_co_u32_e32 v15, vcc, v15, v18, vcc
	s_cselect_b64 s[20:21], -1, 0
	v_mov_b32_e32 v26, s17
	v_add_co_u32_e32 v16, vcc, s16, v16
	s_andn2_b64 s[18:19], s[18:19], exec
	s_and_b64 s[20:21], s[20:21], exec
	v_addc_co_u32_e32 v17, vcc, v17, v26, vcc
	s_or_b64 s[18:19], s[18:19], s[20:21]
	s_waitcnt vmcnt(0)
	v_fmac_f64_e32 v[12:13], v[24:25], v[20:21]
	v_fmac_f64_e32 v[10:11], 0, v[20:21]
	;; [unrolled: 1-line block ×4, first 2 shown]
	s_branch .LBB36_10
.LBB36_13:
	s_or_b64 exec, exec, s[10:11]
.LBB36_14:
	v_cmp_eq_f64_e32 vcc, 0, v[4:5]
	v_cmp_eq_f64_e64 s[0:1], 0, v[6:7]
	s_and_b64 s[0:1], vcc, s[0:1]
	s_and_saveexec_b64 s[2:3], s[0:1]
	s_xor_b64 s[0:1], exec, s[2:3]
	s_cbranch_execz .LBB36_16
; %bb.15:
	v_mul_f64 v[4:5], v[10:11], -v[2:3]
	v_fmac_f64_e32 v[4:5], v[0:1], v[12:13]
	v_mul_f64 v[6:7], v[0:1], v[10:11]
	v_lshlrev_b64 v[0:1], 4, v[8:9]
	v_fmac_f64_e32 v[6:7], v[2:3], v[12:13]
	s_waitcnt lgkmcnt(0)
	v_mov_b32_e32 v2, s5
	v_add_co_u32_e32 v0, vcc, s4, v0
	v_addc_co_u32_e32 v1, vcc, v2, v1, vcc
	global_store_dwordx4 v[0:1], v[4:7], off glc slc
                                        ; implicit-def: $vgpr8
                                        ; implicit-def: $vgpr10_vgpr11
                                        ; implicit-def: $vgpr2_vgpr3
                                        ; implicit-def: $vgpr0_vgpr1
                                        ; implicit-def: $vgpr12_vgpr13
                                        ; implicit-def: $vgpr4_vgpr5
                                        ; implicit-def: $vgpr6_vgpr7
.LBB36_16:
	s_andn2_saveexec_b64 s[0:1], s[0:1]
	s_cbranch_execz .LBB36_18
; %bb.17:
	v_lshlrev_b64 v[8:9], 4, v[8:9]
	s_waitcnt lgkmcnt(0)
	v_mov_b32_e32 v14, s5
	v_add_co_u32_e32 v18, vcc, s4, v8
	v_addc_co_u32_e32 v19, vcc, v14, v9, vcc
	global_load_dwordx4 v[14:17], v[18:19], off glc slc
	v_mul_f64 v[20:21], v[10:11], -v[2:3]
	v_mul_f64 v[8:9], v[0:1], v[10:11]
	v_fmac_f64_e32 v[20:21], v[0:1], v[12:13]
	v_fmac_f64_e32 v[8:9], v[2:3], v[12:13]
	s_waitcnt vmcnt(0)
	v_fmac_f64_e32 v[20:21], v[4:5], v[14:15]
	v_fmac_f64_e32 v[8:9], v[6:7], v[14:15]
	v_fma_f64 v[6:7], -v[6:7], v[16:17], v[20:21]
	v_fmac_f64_e32 v[8:9], v[4:5], v[16:17]
	global_store_dwordx4 v[18:19], v[6:9], off glc slc
.LBB36_18:
	s_endpgm
	.section	.rodata,"a",@progbits
	.p2align	6, 0x0
	.amdhsa_kernel _ZN9rocsparseL13ellmvn_kernelILj512Eid21rocsparse_complex_numIdES2_S2_EEvT0_S3_S3_NS_24const_host_device_scalarIT4_EEPKS3_PKT1_PKT2_S6_PT3_21rocsparse_index_base_b
		.amdhsa_group_segment_fixed_size 8192
		.amdhsa_private_segment_fixed_size 0
		.amdhsa_kernarg_size 88
		.amdhsa_user_sgpr_count 8
		.amdhsa_user_sgpr_private_segment_buffer 1
		.amdhsa_user_sgpr_dispatch_ptr 1
		.amdhsa_user_sgpr_queue_ptr 0
		.amdhsa_user_sgpr_kernarg_segment_ptr 1
		.amdhsa_user_sgpr_dispatch_id 0
		.amdhsa_user_sgpr_flat_scratch_init 0
		.amdhsa_user_sgpr_kernarg_preload_length 0
		.amdhsa_user_sgpr_kernarg_preload_offset 0
		.amdhsa_user_sgpr_private_segment_size 0
		.amdhsa_uses_dynamic_stack 0
		.amdhsa_system_sgpr_private_segment_wavefront_offset 0
		.amdhsa_system_sgpr_workgroup_id_x 1
		.amdhsa_system_sgpr_workgroup_id_y 0
		.amdhsa_system_sgpr_workgroup_id_z 0
		.amdhsa_system_sgpr_workgroup_info 0
		.amdhsa_system_vgpr_workitem_id 2
		.amdhsa_next_free_vgpr 27
		.amdhsa_next_free_sgpr 22
		.amdhsa_accum_offset 28
		.amdhsa_reserve_vcc 1
		.amdhsa_reserve_flat_scratch 0
		.amdhsa_float_round_mode_32 0
		.amdhsa_float_round_mode_16_64 0
		.amdhsa_float_denorm_mode_32 3
		.amdhsa_float_denorm_mode_16_64 3
		.amdhsa_dx10_clamp 1
		.amdhsa_ieee_mode 1
		.amdhsa_fp16_overflow 0
		.amdhsa_tg_split 0
		.amdhsa_exception_fp_ieee_invalid_op 0
		.amdhsa_exception_fp_denorm_src 0
		.amdhsa_exception_fp_ieee_div_zero 0
		.amdhsa_exception_fp_ieee_overflow 0
		.amdhsa_exception_fp_ieee_underflow 0
		.amdhsa_exception_fp_ieee_inexact 0
		.amdhsa_exception_int_div_zero 0
	.end_amdhsa_kernel
	.section	.text._ZN9rocsparseL13ellmvn_kernelILj512Eid21rocsparse_complex_numIdES2_S2_EEvT0_S3_S3_NS_24const_host_device_scalarIT4_EEPKS3_PKT1_PKT2_S6_PT3_21rocsparse_index_base_b,"axG",@progbits,_ZN9rocsparseL13ellmvn_kernelILj512Eid21rocsparse_complex_numIdES2_S2_EEvT0_S3_S3_NS_24const_host_device_scalarIT4_EEPKS3_PKT1_PKT2_S6_PT3_21rocsparse_index_base_b,comdat
.Lfunc_end36:
	.size	_ZN9rocsparseL13ellmvn_kernelILj512Eid21rocsparse_complex_numIdES2_S2_EEvT0_S3_S3_NS_24const_host_device_scalarIT4_EEPKS3_PKT1_PKT2_S6_PT3_21rocsparse_index_base_b, .Lfunc_end36-_ZN9rocsparseL13ellmvn_kernelILj512Eid21rocsparse_complex_numIdES2_S2_EEvT0_S3_S3_NS_24const_host_device_scalarIT4_EEPKS3_PKT1_PKT2_S6_PT3_21rocsparse_index_base_b
                                        ; -- End function
	.section	.AMDGPU.csdata,"",@progbits
; Kernel info:
; codeLenInByte = 860
; NumSgprs: 26
; NumVgprs: 27
; NumAgprs: 0
; TotalNumVgprs: 27
; ScratchSize: 0
; MemoryBound: 0
; FloatMode: 240
; IeeeMode: 1
; LDSByteSize: 8192 bytes/workgroup (compile time only)
; SGPRBlocks: 3
; VGPRBlocks: 3
; NumSGPRsForWavesPerEU: 26
; NumVGPRsForWavesPerEU: 27
; AccumOffset: 28
; Occupancy: 8
; WaveLimiterHint : 1
; COMPUTE_PGM_RSRC2:SCRATCH_EN: 0
; COMPUTE_PGM_RSRC2:USER_SGPR: 8
; COMPUTE_PGM_RSRC2:TRAP_HANDLER: 0
; COMPUTE_PGM_RSRC2:TGID_X_EN: 1
; COMPUTE_PGM_RSRC2:TGID_Y_EN: 0
; COMPUTE_PGM_RSRC2:TGID_Z_EN: 0
; COMPUTE_PGM_RSRC2:TIDIG_COMP_CNT: 2
; COMPUTE_PGM_RSRC3_GFX90A:ACCUM_OFFSET: 6
; COMPUTE_PGM_RSRC3_GFX90A:TG_SPLIT: 0
	.section	.text._ZN9rocsparseL13ellmvt_kernelILj1024Eid21rocsparse_complex_numIdES2_S2_EEv20rocsparse_operation_T0_S4_S4_NS_24const_host_device_scalarIT4_EEPKS4_PKT1_PKT2_PT3_21rocsparse_index_base_b,"axG",@progbits,_ZN9rocsparseL13ellmvt_kernelILj1024Eid21rocsparse_complex_numIdES2_S2_EEv20rocsparse_operation_T0_S4_S4_NS_24const_host_device_scalarIT4_EEPKS4_PKT1_PKT2_PT3_21rocsparse_index_base_b,comdat
	.globl	_ZN9rocsparseL13ellmvt_kernelILj1024Eid21rocsparse_complex_numIdES2_S2_EEv20rocsparse_operation_T0_S4_S4_NS_24const_host_device_scalarIT4_EEPKS4_PKT1_PKT2_PT3_21rocsparse_index_base_b ; -- Begin function _ZN9rocsparseL13ellmvt_kernelILj1024Eid21rocsparse_complex_numIdES2_S2_EEv20rocsparse_operation_T0_S4_S4_NS_24const_host_device_scalarIT4_EEPKS4_PKT1_PKT2_PT3_21rocsparse_index_base_b
	.p2align	8
	.type	_ZN9rocsparseL13ellmvt_kernelILj1024Eid21rocsparse_complex_numIdES2_S2_EEv20rocsparse_operation_T0_S4_S4_NS_24const_host_device_scalarIT4_EEPKS4_PKT1_PKT2_PT3_21rocsparse_index_base_b,@function
_ZN9rocsparseL13ellmvt_kernelILj1024Eid21rocsparse_complex_numIdES2_S2_EEv20rocsparse_operation_T0_S4_S4_NS_24const_host_device_scalarIT4_EEPKS4_PKT1_PKT2_PT3_21rocsparse_index_base_b: ; @_ZN9rocsparseL13ellmvt_kernelILj1024Eid21rocsparse_complex_numIdES2_S2_EEv20rocsparse_operation_T0_S4_S4_NS_24const_host_device_scalarIT4_EEPKS4_PKT1_PKT2_PT3_21rocsparse_index_base_b
; %bb.0:
	s_load_dwordx2 s[16:17], s[6:7], 0x40
	s_load_dwordx2 s[10:11], s[4:5], 0x4
	s_load_dwordx4 s[0:3], s[6:7], 0x10
	v_and_b32_e32 v4, 0x3ff, v0
	v_bfe_u32 v2, v0, 10, 10
	s_waitcnt lgkmcnt(0)
	s_and_b32 s4, 1, s17
	s_lshr_b32 s5, s10, 16
	s_mul_i32 s5, s5, s11
	v_mul_lo_u32 v1, s5, v4
	s_cmp_eq_u32 s4, 1
	v_mad_u32_u24 v1, v2, s11, v1
	v_bfe_u32 v0, v0, 20, 10
	v_add_lshl_u32 v2, v1, v0, 3
	v_pk_mov_b32 v[0:1], s[0:1], s[0:1] op_sel:[0,1]
	s_cselect_b64 vcc, -1, 0
	ds_write_b64 v2, v[0:1]
	s_mov_b64 s[4:5], src_shared_base
	v_cndmask_b32_e32 v0, v0, v2, vcc
	s_and_b64 vcc, vcc, exec
	s_cselect_b32 s4, s5, s1
	v_mov_b32_e32 v1, s4
	flat_load_dwordx2 v[0:1], v[0:1]
	v_pk_mov_b32 v[2:3], s[2:3], s[2:3] op_sel:[0,1]
	s_cbranch_vccnz .LBB37_2
; %bb.1:
	v_pk_mov_b32 v[2:3], s[0:1], s[0:1] op_sel:[0,1]
	flat_load_dwordx2 v[2:3], v[2:3] offset:8
.LBB37_2:
	s_waitcnt vmcnt(0) lgkmcnt(0)
	v_cmp_neq_f64_e32 vcc, 0, v[0:1]
	v_cmp_neq_f64_e64 s[0:1], 0, v[2:3]
	s_or_b64 s[0:1], vcc, s[0:1]
	s_and_saveexec_b64 s[2:3], s[0:1]
	s_cbranch_execz .LBB37_13
; %bb.3:
	s_load_dwordx4 s[12:15], s[6:7], 0x4
	v_lshl_or_b32 v4, s8, 10, v4
	s_waitcnt lgkmcnt(0)
	v_cmp_gt_i32_e32 vcc, s12, v4
	s_and_b64 exec, exec, vcc
	s_cbranch_execz .LBB37_13
; %bb.4:
	s_cmp_lt_i32 s14, 1
	s_cbranch_scc1 .LBB37_13
; %bb.5:
	s_load_dwordx8 s[4:11], s[6:7], 0x20
	v_ashrrev_i32_e32 v5, 31, v4
	v_lshlrev_b64 v[6:7], 4, v[4:5]
	s_mov_b32 s0, 0
	s_brev_b32 s1, 1
	s_waitcnt lgkmcnt(0)
	v_mov_b32_e32 v8, s9
	v_add_co_u32_e32 v6, vcc, s8, v6
	v_addc_co_u32_e32 v7, vcc, v8, v7, vcc
	global_load_dwordx4 v[10:13], v[6:7], off
	s_mov_b32 s8, s12
	s_ashr_i32 s15, s12, 31
	s_mov_b64 s[2:3], 0
	s_mov_b32 s12, 0
	v_mov_b32_e32 v22, s8
	v_mov_b32_e32 v23, s5
	;; [unrolled: 1-line block ×3, first 2 shown]
                                        ; implicit-def: $sgpr8_sgpr9
	s_waitcnt vmcnt(0)
	v_mul_f64 v[6:7], v[12:13], -v[2:3]
	v_mul_f64 v[8:9], v[0:1], v[12:13]
	v_fmac_f64_e32 v[6:7], v[0:1], v[10:11]
	v_fmac_f64_e32 v[8:9], v[2:3], v[10:11]
	v_mul_f64 v[10:11], v[8:9], s[0:1]
	v_mul_f64 v[12:13], v[6:7], 0
	s_branch .LBB37_7
.LBB37_6:                               ;   in Loop: Header=BB37_7 Depth=1
	s_or_b64 exec, exec, s[0:1]
	s_and_b64 s[0:1], exec, s[8:9]
	s_or_b64 s[2:3], s[0:1], s[2:3]
	s_andn2_b64 exec, exec, s[2:3]
	s_cbranch_execz .LBB37_13
.LBB37_7:                               ; =>This Loop Header: Depth=1
                                        ;     Child Loop BB37_9 Depth 2
                                        ;     Child Loop BB37_11 Depth 2
	v_mad_u64_u32 v[0:1], s[0:1], s12, v22, v[4:5]
	s_mul_i32 s0, s12, s15
	v_add_u32_e32 v1, s0, v1
	v_lshlrev_b64 v[2:3], 2, v[0:1]
	v_add_co_u32_e32 v2, vcc, s4, v2
	v_addc_co_u32_e32 v3, vcc, v23, v3, vcc
	global_load_dword v2, v[2:3], off glc slc
	s_or_b64 s[8:9], s[8:9], exec
	s_waitcnt vmcnt(0)
	v_subrev_u32_e32 v14, s16, v2
	v_cmp_lt_i32_e32 vcc, -1, v14
	v_cmp_gt_i32_e64 s[0:1], s13, v14
	s_and_b64 s[18:19], vcc, s[0:1]
	s_and_saveexec_b64 s[0:1], s[18:19]
	s_cbranch_execz .LBB37_6
; %bb.8:                                ;   in Loop: Header=BB37_7 Depth=1
	v_lshlrev_b64 v[0:1], 3, v[0:1]
	v_mov_b32_e32 v2, s7
	v_add_co_u32_e32 v0, vcc, s6, v0
	v_addc_co_u32_e32 v1, vcc, v2, v1, vcc
	global_load_dwordx2 v[18:19], v[0:1], off glc slc
	v_lshlrev_b64 v[0:1], 4, v[14:15]
	v_mov_b32_e32 v2, s11
	v_add_co_u32_e32 v16, vcc, s10, v0
	v_addc_co_u32_e32 v17, vcc, v2, v1, vcc
	global_load_dwordx2 v[2:3], v[16:17], off
	s_mov_b64 s[18:19], 0
	s_waitcnt vmcnt(1)
	v_fma_f64 v[20:21], v[6:7], v[18:19], v[10:11]
.LBB37_9:                               ;   Parent Loop BB37_7 Depth=1
                                        ; =>  This Inner Loop Header: Depth=2
	s_waitcnt vmcnt(0)
	v_add_f64 v[0:1], v[2:3], v[20:21]
	global_atomic_cmpswap_x2 v[0:1], v[16:17], v[0:3], off glc
	s_waitcnt vmcnt(0)
	v_cmp_eq_u64_e32 vcc, v[0:1], v[2:3]
	s_or_b64 s[18:19], vcc, s[18:19]
	v_pk_mov_b32 v[2:3], v[0:1], v[0:1] op_sel:[0,1]
	s_andn2_b64 exec, exec, s[18:19]
	s_cbranch_execnz .LBB37_9
; %bb.10:                               ;   in Loop: Header=BB37_7 Depth=1
	s_or_b64 exec, exec, s[18:19]
	global_load_dwordx2 v[2:3], v[16:17], off offset:8
	v_fma_f64 v[18:19], v[8:9], v[18:19], v[12:13]
	s_mov_b64 s[18:19], 0
.LBB37_11:                              ;   Parent Loop BB37_7 Depth=1
                                        ; =>  This Inner Loop Header: Depth=2
	s_waitcnt vmcnt(0)
	v_add_f64 v[0:1], v[2:3], v[18:19]
	global_atomic_cmpswap_x2 v[0:1], v[16:17], v[0:3], off offset:8 glc
	s_waitcnt vmcnt(0)
	v_cmp_eq_u64_e32 vcc, v[0:1], v[2:3]
	s_or_b64 s[18:19], vcc, s[18:19]
	v_pk_mov_b32 v[2:3], v[0:1], v[0:1] op_sel:[0,1]
	s_andn2_b64 exec, exec, s[18:19]
	s_cbranch_execnz .LBB37_11
; %bb.12:                               ;   in Loop: Header=BB37_7 Depth=1
	s_or_b64 exec, exec, s[18:19]
	s_add_i32 s12, s12, 1
	s_cmp_eq_u32 s12, s14
	s_cselect_b64 s[18:19], -1, 0
	s_andn2_b64 s[8:9], s[8:9], exec
	s_and_b64 s[18:19], s[18:19], exec
	s_or_b64 s[8:9], s[8:9], s[18:19]
	s_branch .LBB37_6
.LBB37_13:
	s_endpgm
	.section	.rodata,"a",@progbits
	.p2align	6, 0x0
	.amdhsa_kernel _ZN9rocsparseL13ellmvt_kernelILj1024Eid21rocsparse_complex_numIdES2_S2_EEv20rocsparse_operation_T0_S4_S4_NS_24const_host_device_scalarIT4_EEPKS4_PKT1_PKT2_PT3_21rocsparse_index_base_b
		.amdhsa_group_segment_fixed_size 8192
		.amdhsa_private_segment_fixed_size 0
		.amdhsa_kernarg_size 72
		.amdhsa_user_sgpr_count 8
		.amdhsa_user_sgpr_private_segment_buffer 1
		.amdhsa_user_sgpr_dispatch_ptr 1
		.amdhsa_user_sgpr_queue_ptr 0
		.amdhsa_user_sgpr_kernarg_segment_ptr 1
		.amdhsa_user_sgpr_dispatch_id 0
		.amdhsa_user_sgpr_flat_scratch_init 0
		.amdhsa_user_sgpr_kernarg_preload_length 0
		.amdhsa_user_sgpr_kernarg_preload_offset 0
		.amdhsa_user_sgpr_private_segment_size 0
		.amdhsa_uses_dynamic_stack 0
		.amdhsa_system_sgpr_private_segment_wavefront_offset 0
		.amdhsa_system_sgpr_workgroup_id_x 1
		.amdhsa_system_sgpr_workgroup_id_y 0
		.amdhsa_system_sgpr_workgroup_id_z 0
		.amdhsa_system_sgpr_workgroup_info 0
		.amdhsa_system_vgpr_workitem_id 2
		.amdhsa_next_free_vgpr 24
		.amdhsa_next_free_sgpr 20
		.amdhsa_accum_offset 24
		.amdhsa_reserve_vcc 1
		.amdhsa_reserve_flat_scratch 0
		.amdhsa_float_round_mode_32 0
		.amdhsa_float_round_mode_16_64 0
		.amdhsa_float_denorm_mode_32 3
		.amdhsa_float_denorm_mode_16_64 3
		.amdhsa_dx10_clamp 1
		.amdhsa_ieee_mode 1
		.amdhsa_fp16_overflow 0
		.amdhsa_tg_split 0
		.amdhsa_exception_fp_ieee_invalid_op 0
		.amdhsa_exception_fp_denorm_src 0
		.amdhsa_exception_fp_ieee_div_zero 0
		.amdhsa_exception_fp_ieee_overflow 0
		.amdhsa_exception_fp_ieee_underflow 0
		.amdhsa_exception_fp_ieee_inexact 0
		.amdhsa_exception_int_div_zero 0
	.end_amdhsa_kernel
	.section	.text._ZN9rocsparseL13ellmvt_kernelILj1024Eid21rocsparse_complex_numIdES2_S2_EEv20rocsparse_operation_T0_S4_S4_NS_24const_host_device_scalarIT4_EEPKS4_PKT1_PKT2_PT3_21rocsparse_index_base_b,"axG",@progbits,_ZN9rocsparseL13ellmvt_kernelILj1024Eid21rocsparse_complex_numIdES2_S2_EEv20rocsparse_operation_T0_S4_S4_NS_24const_host_device_scalarIT4_EEPKS4_PKT1_PKT2_PT3_21rocsparse_index_base_b,comdat
.Lfunc_end37:
	.size	_ZN9rocsparseL13ellmvt_kernelILj1024Eid21rocsparse_complex_numIdES2_S2_EEv20rocsparse_operation_T0_S4_S4_NS_24const_host_device_scalarIT4_EEPKS4_PKT1_PKT2_PT3_21rocsparse_index_base_b, .Lfunc_end37-_ZN9rocsparseL13ellmvt_kernelILj1024Eid21rocsparse_complex_numIdES2_S2_EEv20rocsparse_operation_T0_S4_S4_NS_24const_host_device_scalarIT4_EEPKS4_PKT1_PKT2_PT3_21rocsparse_index_base_b
                                        ; -- End function
	.section	.AMDGPU.csdata,"",@progbits
; Kernel info:
; codeLenInByte = 688
; NumSgprs: 24
; NumVgprs: 24
; NumAgprs: 0
; TotalNumVgprs: 24
; ScratchSize: 0
; MemoryBound: 0
; FloatMode: 240
; IeeeMode: 1
; LDSByteSize: 8192 bytes/workgroup (compile time only)
; SGPRBlocks: 2
; VGPRBlocks: 2
; NumSGPRsForWavesPerEU: 24
; NumVGPRsForWavesPerEU: 24
; AccumOffset: 24
; Occupancy: 8
; WaveLimiterHint : 1
; COMPUTE_PGM_RSRC2:SCRATCH_EN: 0
; COMPUTE_PGM_RSRC2:USER_SGPR: 8
; COMPUTE_PGM_RSRC2:TRAP_HANDLER: 0
; COMPUTE_PGM_RSRC2:TGID_X_EN: 1
; COMPUTE_PGM_RSRC2:TGID_Y_EN: 0
; COMPUTE_PGM_RSRC2:TGID_Z_EN: 0
; COMPUTE_PGM_RSRC2:TIDIG_COMP_CNT: 2
; COMPUTE_PGM_RSRC3_GFX90A:ACCUM_OFFSET: 5
; COMPUTE_PGM_RSRC3_GFX90A:TG_SPLIT: 0
	.section	.text._ZN9rocsparseL13ellmvn_kernelILj512Eld21rocsparse_complex_numIdES2_S2_EEvT0_S3_S3_NS_24const_host_device_scalarIT4_EEPKS3_PKT1_PKT2_S6_PT3_21rocsparse_index_base_b,"axG",@progbits,_ZN9rocsparseL13ellmvn_kernelILj512Eld21rocsparse_complex_numIdES2_S2_EEvT0_S3_S3_NS_24const_host_device_scalarIT4_EEPKS3_PKT1_PKT2_S6_PT3_21rocsparse_index_base_b,comdat
	.globl	_ZN9rocsparseL13ellmvn_kernelILj512Eld21rocsparse_complex_numIdES2_S2_EEvT0_S3_S3_NS_24const_host_device_scalarIT4_EEPKS3_PKT1_PKT2_S6_PT3_21rocsparse_index_base_b ; -- Begin function _ZN9rocsparseL13ellmvn_kernelILj512Eld21rocsparse_complex_numIdES2_S2_EEvT0_S3_S3_NS_24const_host_device_scalarIT4_EEPKS3_PKT1_PKT2_S6_PT3_21rocsparse_index_base_b
	.p2align	8
	.type	_ZN9rocsparseL13ellmvn_kernelILj512Eld21rocsparse_complex_numIdES2_S2_EEvT0_S3_S3_NS_24const_host_device_scalarIT4_EEPKS3_PKT1_PKT2_S6_PT3_21rocsparse_index_base_b,@function
_ZN9rocsparseL13ellmvn_kernelILj512Eld21rocsparse_complex_numIdES2_S2_EEvT0_S3_S3_NS_24const_host_device_scalarIT4_EEPKS3_PKT1_PKT2_S6_PT3_21rocsparse_index_base_b: ; @_ZN9rocsparseL13ellmvn_kernelILj512Eld21rocsparse_complex_numIdES2_S2_EEvT0_S3_S3_NS_24const_host_device_scalarIT4_EEPKS3_PKT1_PKT2_S6_PT3_21rocsparse_index_base_b
; %bb.0:
	s_load_dwordx2 s[2:3], s[6:7], 0x58
	s_load_dwordx8 s[12:19], s[6:7], 0x0
	s_load_dwordx2 s[10:11], s[4:5], 0x4
	s_mov_b64 s[4:5], src_shared_base
	s_load_dwordx4 s[20:23], s[6:7], 0x40
	s_load_dwordx2 s[24:25], s[6:7], 0x20
	s_waitcnt lgkmcnt(0)
	s_bitcmp1_b32 s3, 0
	s_cselect_b64 s[0:1], -1, 0
	s_and_b64 vcc, s[0:1], exec
	s_cselect_b32 s3, s5, s19
	s_lshr_b32 s4, s10, 16
	v_and_b32_e32 v8, 0x3ff, v0
	s_mul_i32 s4, s4, s11
	v_mul_lo_u32 v1, s4, v8
	v_bfe_u32 v2, v0, 10, 10
	v_mad_u32_u24 v1, v2, s11, v1
	v_bfe_u32 v0, v0, 20, 10
	v_add_lshl_u32 v4, v1, v0, 3
	v_mov_b32_e32 v5, s18
	v_add_u32_e32 v6, 0x1000, v4
	v_pk_mov_b32 v[0:1], s[18:19], s[18:19] op_sel:[0,1]
	v_pk_mov_b32 v[2:3], s[20:21], s[20:21] op_sel:[0,1]
	ds_write2st64_b64 v4, v[2:3], v[0:1] offset1:8
	v_cndmask_b32_e64 v0, v5, v6, s[0:1]
	v_mov_b32_e32 v1, s3
	flat_load_dwordx2 v[0:1], v[0:1]
	s_xor_b64 s[10:11], s[0:1], -1
	v_pk_mov_b32 v[2:3], s[24:25], s[24:25] op_sel:[0,1]
	s_cbranch_vccnz .LBB38_2
; %bb.1:
	v_pk_mov_b32 v[2:3], s[18:19], s[18:19] op_sel:[0,1]
	flat_load_dwordx2 v[2:3], v[2:3] offset:8
.LBB38_2:
	s_and_b64 s[18:19], s[0:1], exec
	s_cselect_b32 s3, s5, s21
	v_mov_b32_e32 v5, s20
	v_cndmask_b32_e64 v4, v5, v4, s[0:1]
	v_mov_b32_e32 v5, s3
	flat_load_dwordx2 v[4:5], v[4:5]
	s_andn2_b64 vcc, exec, s[10:11]
	v_pk_mov_b32 v[6:7], s[22:23], s[22:23] op_sel:[0,1]
	s_cbranch_vccnz .LBB38_4
; %bb.3:
	v_pk_mov_b32 v[6:7], s[20:21], s[20:21] op_sel:[0,1]
	flat_load_dwordx2 v[6:7], v[6:7] offset:8
.LBB38_4:
	s_waitcnt vmcnt(0) lgkmcnt(0)
	v_cmp_eq_f64_e32 vcc, 0, v[0:1]
	v_cmp_eq_f64_e64 s[0:1], 0, v[2:3]
	s_and_b64 s[10:11], vcc, s[0:1]
	s_mov_b64 s[0:1], -1
	s_and_saveexec_b64 s[4:5], s[10:11]
; %bb.5:
	v_cmp_neq_f64_e32 vcc, 1.0, v[4:5]
	v_cmp_neq_f64_e64 s[0:1], 0, v[6:7]
	s_or_b64 s[0:1], vcc, s[0:1]
	s_orn2_b64 s[0:1], s[0:1], exec
; %bb.6:
	s_or_b64 exec, exec, s[4:5]
	s_and_saveexec_b64 s[4:5], s[0:1]
	s_cbranch_execz .LBB38_18
; %bb.7:
	v_lshl_or_b32 v8, s8, 9, v8
	v_mov_b32_e32 v9, 0
	v_cmp_gt_i64_e32 vcc, s[12:13], v[8:9]
	s_and_b64 exec, exec, vcc
	s_cbranch_execz .LBB38_18
; %bb.8:
	s_load_dwordx2 s[4:5], s[6:7], 0x50
	v_cmp_lt_i64_e64 s[0:1], s[16:17], 1
	v_pk_mov_b32 v[10:11], 0, 0
	s_mov_b64 s[18:19], 0
	s_and_b64 vcc, exec, s[0:1]
	v_pk_mov_b32 v[12:13], v[10:11], v[10:11] op_sel:[0,1]
	s_cbranch_vccnz .LBB38_14
; %bb.9:
	s_load_dwordx4 s[8:11], s[6:7], 0x28
	s_load_dwordx2 s[20:21], s[6:7], 0x38
	s_mov_b32 s0, 0
	v_pk_mov_b32 v[10:11], 0, 0
	v_lshlrev_b64 v[14:15], 3, v[8:9]
	s_lshl_b64 s[6:7], s[12:13], 3
	s_waitcnt lgkmcnt(0)
	v_mov_b32_e32 v18, s9
	v_mov_b32_e32 v19, s0
	v_pk_mov_b32 v[12:13], v[10:11], v[10:11] op_sel:[0,1]
                                        ; implicit-def: $sgpr12_sgpr13
	s_branch .LBB38_11
.LBB38_10:                              ;   in Loop: Header=BB38_11 Depth=1
	s_or_b64 exec, exec, s[0:1]
	s_and_b64 s[0:1], exec, s[12:13]
	s_or_b64 s[18:19], s[0:1], s[18:19]
	s_andn2_b64 exec, exec, s[18:19]
	s_cbranch_execz .LBB38_13
.LBB38_11:                              ; =>This Inner Loop Header: Depth=1
	v_add_co_u32_e32 v16, vcc, s8, v14
	v_addc_co_u32_e32 v17, vcc, v18, v15, vcc
	global_load_dwordx2 v[16:17], v[16:17], off glc slc
	s_or_b64 s[12:13], s[12:13], exec
	s_waitcnt vmcnt(0)
	v_subrev_co_u32_e32 v16, vcc, s2, v16
	v_subb_co_u32_e32 v17, vcc, v17, v19, vcc
	v_cmp_lt_i64_e32 vcc, -1, v[16:17]
	v_cmp_gt_i64_e64 s[0:1], s[14:15], v[16:17]
	s_and_b64 s[22:23], vcc, s[0:1]
	s_and_saveexec_b64 s[0:1], s[22:23]
	s_cbranch_execz .LBB38_10
; %bb.12:                               ;   in Loop: Header=BB38_11 Depth=1
	v_mov_b32_e32 v21, s11
	v_add_co_u32_e32 v20, vcc, s10, v14
	v_addc_co_u32_e32 v21, vcc, v21, v15, vcc
	v_lshlrev_b64 v[16:17], 4, v[16:17]
	global_load_dwordx2 v[24:25], v[20:21], off glc slc
	v_mov_b32_e32 v20, s21
	v_add_co_u32_e32 v16, vcc, s20, v16
	v_addc_co_u32_e32 v17, vcc, v20, v17, vcc
	global_load_dwordx4 v[20:23], v[16:17], off
	s_add_u32 s16, s16, -1
	s_addc_u32 s17, s17, -1
	s_cmp_eq_u64 s[16:17], 0
	s_cselect_b64 s[22:23], -1, 0
	v_mov_b32_e32 v16, s7
	v_add_co_u32_e32 v14, vcc, s6, v14
	s_andn2_b64 s[12:13], s[12:13], exec
	s_and_b64 s[22:23], s[22:23], exec
	v_addc_co_u32_e32 v15, vcc, v15, v16, vcc
	s_or_b64 s[12:13], s[12:13], s[22:23]
	s_waitcnt vmcnt(0)
	v_fmac_f64_e32 v[12:13], v[24:25], v[20:21]
	v_fmac_f64_e32 v[10:11], 0, v[20:21]
	;; [unrolled: 1-line block ×4, first 2 shown]
	s_branch .LBB38_10
.LBB38_13:
	s_or_b64 exec, exec, s[18:19]
.LBB38_14:
	v_cmp_eq_f64_e32 vcc, 0, v[4:5]
	v_cmp_eq_f64_e64 s[0:1], 0, v[6:7]
	s_and_b64 s[0:1], vcc, s[0:1]
	s_and_saveexec_b64 s[2:3], s[0:1]
	s_xor_b64 s[0:1], exec, s[2:3]
	s_cbranch_execz .LBB38_16
; %bb.15:
	v_mul_f64 v[4:5], v[10:11], -v[2:3]
	v_fmac_f64_e32 v[4:5], v[0:1], v[12:13]
	v_mul_f64 v[6:7], v[0:1], v[10:11]
	v_lshlrev_b64 v[0:1], 4, v[8:9]
	v_fmac_f64_e32 v[6:7], v[2:3], v[12:13]
	s_waitcnt lgkmcnt(0)
	v_mov_b32_e32 v2, s5
	v_add_co_u32_e32 v0, vcc, s4, v0
	v_addc_co_u32_e32 v1, vcc, v2, v1, vcc
	global_store_dwordx4 v[0:1], v[4:7], off glc slc
                                        ; implicit-def: $vgpr8_vgpr9
                                        ; implicit-def: $vgpr10_vgpr11
                                        ; implicit-def: $vgpr2_vgpr3
                                        ; implicit-def: $vgpr0_vgpr1
                                        ; implicit-def: $vgpr12_vgpr13
                                        ; implicit-def: $vgpr4_vgpr5
                                        ; implicit-def: $vgpr6_vgpr7
.LBB38_16:
	s_andn2_saveexec_b64 s[0:1], s[0:1]
	s_cbranch_execz .LBB38_18
; %bb.17:
	v_lshlrev_b64 v[8:9], 4, v[8:9]
	s_waitcnt lgkmcnt(0)
	v_mov_b32_e32 v14, s5
	v_add_co_u32_e32 v18, vcc, s4, v8
	v_addc_co_u32_e32 v19, vcc, v14, v9, vcc
	global_load_dwordx4 v[14:17], v[18:19], off glc slc
	v_mul_f64 v[20:21], v[10:11], -v[2:3]
	v_mul_f64 v[8:9], v[0:1], v[10:11]
	v_fmac_f64_e32 v[20:21], v[0:1], v[12:13]
	v_fmac_f64_e32 v[8:9], v[2:3], v[12:13]
	s_waitcnt vmcnt(0)
	v_fmac_f64_e32 v[20:21], v[4:5], v[14:15]
	v_fmac_f64_e32 v[8:9], v[6:7], v[14:15]
	v_fma_f64 v[6:7], -v[6:7], v[16:17], v[20:21]
	v_fmac_f64_e32 v[8:9], v[4:5], v[16:17]
	global_store_dwordx4 v[18:19], v[6:9], off glc slc
.LBB38_18:
	s_endpgm
	.section	.rodata,"a",@progbits
	.p2align	6, 0x0
	.amdhsa_kernel _ZN9rocsparseL13ellmvn_kernelILj512Eld21rocsparse_complex_numIdES2_S2_EEvT0_S3_S3_NS_24const_host_device_scalarIT4_EEPKS3_PKT1_PKT2_S6_PT3_21rocsparse_index_base_b
		.amdhsa_group_segment_fixed_size 8192
		.amdhsa_private_segment_fixed_size 0
		.amdhsa_kernarg_size 96
		.amdhsa_user_sgpr_count 8
		.amdhsa_user_sgpr_private_segment_buffer 1
		.amdhsa_user_sgpr_dispatch_ptr 1
		.amdhsa_user_sgpr_queue_ptr 0
		.amdhsa_user_sgpr_kernarg_segment_ptr 1
		.amdhsa_user_sgpr_dispatch_id 0
		.amdhsa_user_sgpr_flat_scratch_init 0
		.amdhsa_user_sgpr_kernarg_preload_length 0
		.amdhsa_user_sgpr_kernarg_preload_offset 0
		.amdhsa_user_sgpr_private_segment_size 0
		.amdhsa_uses_dynamic_stack 0
		.amdhsa_system_sgpr_private_segment_wavefront_offset 0
		.amdhsa_system_sgpr_workgroup_id_x 1
		.amdhsa_system_sgpr_workgroup_id_y 0
		.amdhsa_system_sgpr_workgroup_id_z 0
		.amdhsa_system_sgpr_workgroup_info 0
		.amdhsa_system_vgpr_workitem_id 2
		.amdhsa_next_free_vgpr 26
		.amdhsa_next_free_sgpr 26
		.amdhsa_accum_offset 28
		.amdhsa_reserve_vcc 1
		.amdhsa_reserve_flat_scratch 0
		.amdhsa_float_round_mode_32 0
		.amdhsa_float_round_mode_16_64 0
		.amdhsa_float_denorm_mode_32 3
		.amdhsa_float_denorm_mode_16_64 3
		.amdhsa_dx10_clamp 1
		.amdhsa_ieee_mode 1
		.amdhsa_fp16_overflow 0
		.amdhsa_tg_split 0
		.amdhsa_exception_fp_ieee_invalid_op 0
		.amdhsa_exception_fp_denorm_src 0
		.amdhsa_exception_fp_ieee_div_zero 0
		.amdhsa_exception_fp_ieee_overflow 0
		.amdhsa_exception_fp_ieee_underflow 0
		.amdhsa_exception_fp_ieee_inexact 0
		.amdhsa_exception_int_div_zero 0
	.end_amdhsa_kernel
	.section	.text._ZN9rocsparseL13ellmvn_kernelILj512Eld21rocsparse_complex_numIdES2_S2_EEvT0_S3_S3_NS_24const_host_device_scalarIT4_EEPKS3_PKT1_PKT2_S6_PT3_21rocsparse_index_base_b,"axG",@progbits,_ZN9rocsparseL13ellmvn_kernelILj512Eld21rocsparse_complex_numIdES2_S2_EEvT0_S3_S3_NS_24const_host_device_scalarIT4_EEPKS3_PKT1_PKT2_S6_PT3_21rocsparse_index_base_b,comdat
.Lfunc_end38:
	.size	_ZN9rocsparseL13ellmvn_kernelILj512Eld21rocsparse_complex_numIdES2_S2_EEvT0_S3_S3_NS_24const_host_device_scalarIT4_EEPKS3_PKT1_PKT2_S6_PT3_21rocsparse_index_base_b, .Lfunc_end38-_ZN9rocsparseL13ellmvn_kernelILj512Eld21rocsparse_complex_numIdES2_S2_EEvT0_S3_S3_NS_24const_host_device_scalarIT4_EEPKS3_PKT1_PKT2_S6_PT3_21rocsparse_index_base_b
                                        ; -- End function
	.section	.AMDGPU.csdata,"",@progbits
; Kernel info:
; codeLenInByte = 844
; NumSgprs: 30
; NumVgprs: 26
; NumAgprs: 0
; TotalNumVgprs: 26
; ScratchSize: 0
; MemoryBound: 0
; FloatMode: 240
; IeeeMode: 1
; LDSByteSize: 8192 bytes/workgroup (compile time only)
; SGPRBlocks: 3
; VGPRBlocks: 3
; NumSGPRsForWavesPerEU: 30
; NumVGPRsForWavesPerEU: 26
; AccumOffset: 28
; Occupancy: 8
; WaveLimiterHint : 1
; COMPUTE_PGM_RSRC2:SCRATCH_EN: 0
; COMPUTE_PGM_RSRC2:USER_SGPR: 8
; COMPUTE_PGM_RSRC2:TRAP_HANDLER: 0
; COMPUTE_PGM_RSRC2:TGID_X_EN: 1
; COMPUTE_PGM_RSRC2:TGID_Y_EN: 0
; COMPUTE_PGM_RSRC2:TGID_Z_EN: 0
; COMPUTE_PGM_RSRC2:TIDIG_COMP_CNT: 2
; COMPUTE_PGM_RSRC3_GFX90A:ACCUM_OFFSET: 6
; COMPUTE_PGM_RSRC3_GFX90A:TG_SPLIT: 0
	.section	.text._ZN9rocsparseL13ellmvt_kernelILj1024Eld21rocsparse_complex_numIdES2_S2_EEv20rocsparse_operation_T0_S4_S4_NS_24const_host_device_scalarIT4_EEPKS4_PKT1_PKT2_PT3_21rocsparse_index_base_b,"axG",@progbits,_ZN9rocsparseL13ellmvt_kernelILj1024Eld21rocsparse_complex_numIdES2_S2_EEv20rocsparse_operation_T0_S4_S4_NS_24const_host_device_scalarIT4_EEPKS4_PKT1_PKT2_PT3_21rocsparse_index_base_b,comdat
	.globl	_ZN9rocsparseL13ellmvt_kernelILj1024Eld21rocsparse_complex_numIdES2_S2_EEv20rocsparse_operation_T0_S4_S4_NS_24const_host_device_scalarIT4_EEPKS4_PKT1_PKT2_PT3_21rocsparse_index_base_b ; -- Begin function _ZN9rocsparseL13ellmvt_kernelILj1024Eld21rocsparse_complex_numIdES2_S2_EEv20rocsparse_operation_T0_S4_S4_NS_24const_host_device_scalarIT4_EEPKS4_PKT1_PKT2_PT3_21rocsparse_index_base_b
	.p2align	8
	.type	_ZN9rocsparseL13ellmvt_kernelILj1024Eld21rocsparse_complex_numIdES2_S2_EEv20rocsparse_operation_T0_S4_S4_NS_24const_host_device_scalarIT4_EEPKS4_PKT1_PKT2_PT3_21rocsparse_index_base_b,@function
_ZN9rocsparseL13ellmvt_kernelILj1024Eld21rocsparse_complex_numIdES2_S2_EEv20rocsparse_operation_T0_S4_S4_NS_24const_host_device_scalarIT4_EEPKS4_PKT1_PKT2_PT3_21rocsparse_index_base_b: ; @_ZN9rocsparseL13ellmvt_kernelILj1024Eld21rocsparse_complex_numIdES2_S2_EEv20rocsparse_operation_T0_S4_S4_NS_24const_host_device_scalarIT4_EEPKS4_PKT1_PKT2_PT3_21rocsparse_index_base_b
; %bb.0:
	s_load_dwordx2 s[2:3], s[6:7], 0x50
	s_load_dwordx2 s[0:1], s[4:5], 0x4
	s_load_dwordx8 s[12:19], s[6:7], 0x8
	v_and_b32_e32 v4, 0x3ff, v0
	v_bfe_u32 v2, v0, 10, 10
	s_waitcnt lgkmcnt(0)
	s_and_b32 s3, 1, s3
	s_lshr_b32 s0, s0, 16
	s_mul_i32 s0, s0, s1
	v_mul_lo_u32 v1, s0, v4
	s_cmp_eq_u32 s3, 1
	v_mad_u32_u24 v1, v2, s1, v1
	v_bfe_u32 v0, v0, 20, 10
	v_add_lshl_u32 v2, v1, v0, 3
	v_pk_mov_b32 v[0:1], s[18:19], s[18:19] op_sel:[0,1]
	s_cselect_b64 vcc, -1, 0
	ds_write_b64 v2, v[0:1]
	s_mov_b64 s[0:1], src_shared_base
	v_cndmask_b32_e32 v0, v0, v2, vcc
	s_and_b64 vcc, vcc, exec
	s_cselect_b32 s0, s1, s19
	v_mov_b32_e32 v1, s0
	flat_load_dwordx2 v[0:1], v[0:1]
	s_load_dwordx2 s[0:1], s[6:7], 0x28
	s_waitcnt lgkmcnt(0)
	v_pk_mov_b32 v[2:3], s[0:1], s[0:1] op_sel:[0,1]
	s_cbranch_vccnz .LBB39_2
; %bb.1:
	v_pk_mov_b32 v[2:3], s[18:19], s[18:19] op_sel:[0,1]
	flat_load_dwordx2 v[2:3], v[2:3] offset:8
.LBB39_2:
	s_waitcnt vmcnt(0)
	v_cmp_neq_f64_e32 vcc, 0, v[0:1]
	s_waitcnt lgkmcnt(0)
	v_cmp_neq_f64_e64 s[0:1], 0, v[2:3]
	s_or_b64 s[0:1], vcc, s[0:1]
	s_and_saveexec_b64 s[4:5], s[0:1]
	s_cbranch_execz .LBB39_13
; %bb.3:
	v_lshl_or_b32 v4, s8, 10, v4
	v_mov_b32_e32 v5, 0
	v_cmp_gt_i64_e32 vcc, s[12:13], v[4:5]
	s_and_b64 exec, exec, vcc
	s_cbranch_execz .LBB39_13
; %bb.4:
	v_cmp_lt_i64_e64 s[0:1], s[16:17], 1
	s_and_b64 vcc, exec, s[0:1]
	s_cbranch_vccnz .LBB39_13
; %bb.5:
	s_load_dwordx8 s[4:11], s[6:7], 0x30
	v_lshlrev_b64 v[6:7], 4, v[4:5]
	s_mov_b32 s0, 0
	s_mov_b32 s3, 0
	s_brev_b32 s1, 1
	s_waitcnt lgkmcnt(0)
	v_mov_b32_e32 v8, s9
	v_add_co_u32_e32 v6, vcc, s8, v6
	v_addc_co_u32_e32 v7, vcc, v8, v7, vcc
	global_load_dwordx4 v[10:13], v[6:7], off
	s_mov_b64 s[8:9], 0
	v_mov_b32_e32 v20, s12
	v_mov_b32_e32 v21, s3
	;; [unrolled: 1-line block ×3, first 2 shown]
	s_mov_b64 s[20:21], 0
                                        ; implicit-def: $sgpr18_sgpr19
	s_waitcnt vmcnt(0)
	v_mul_f64 v[6:7], v[12:13], -v[2:3]
	v_mul_f64 v[8:9], v[0:1], v[12:13]
	v_fmac_f64_e32 v[6:7], v[0:1], v[10:11]
	v_fmac_f64_e32 v[8:9], v[2:3], v[10:11]
	v_mul_f64 v[10:11], v[8:9], s[0:1]
	v_mul_f64 v[12:13], v[6:7], 0
	s_branch .LBB39_7
.LBB39_6:                               ;   in Loop: Header=BB39_7 Depth=1
	s_or_b64 exec, exec, s[0:1]
	s_and_b64 s[0:1], exec, s[18:19]
	s_or_b64 s[8:9], s[0:1], s[8:9]
	s_andn2_b64 exec, exec, s[8:9]
	s_cbranch_execz .LBB39_13
.LBB39_7:                               ; =>This Loop Header: Depth=1
                                        ;     Child Loop BB39_9 Depth 2
                                        ;     Child Loop BB39_11 Depth 2
	s_mul_i32 s0, s21, s12
	s_mul_i32 s1, s20, s13
	s_add_i32 s3, s1, s0
	v_mad_u64_u32 v[0:1], s[0:1], s20, v20, v[4:5]
	v_add_u32_e32 v1, s3, v1
	v_lshlrev_b64 v[0:1], 3, v[0:1]
	v_add_co_u32_e32 v2, vcc, s4, v0
	v_addc_co_u32_e32 v3, vcc, v22, v1, vcc
	global_load_dwordx2 v[2:3], v[2:3], off glc slc
	s_or_b64 s[18:19], s[18:19], exec
	s_waitcnt vmcnt(0)
	v_subrev_co_u32_e32 v2, vcc, s2, v2
	v_subb_co_u32_e32 v3, vcc, v3, v21, vcc
	v_cmp_lt_i64_e32 vcc, -1, v[2:3]
	v_cmp_gt_i64_e64 s[0:1], s[14:15], v[2:3]
	s_and_b64 s[22:23], vcc, s[0:1]
	s_and_saveexec_b64 s[0:1], s[22:23]
	s_cbranch_execz .LBB39_6
; %bb.8:                                ;   in Loop: Header=BB39_7 Depth=1
	v_mov_b32_e32 v14, s7
	v_add_co_u32_e32 v0, vcc, s6, v0
	v_addc_co_u32_e32 v1, vcc, v14, v1, vcc
	global_load_dwordx2 v[16:17], v[0:1], off glc slc
	v_lshlrev_b64 v[0:1], 4, v[2:3]
	v_mov_b32_e32 v2, s11
	v_add_co_u32_e32 v14, vcc, s10, v0
	v_addc_co_u32_e32 v15, vcc, v2, v1, vcc
	global_load_dwordx2 v[2:3], v[14:15], off
	s_mov_b64 s[22:23], 0
	s_waitcnt vmcnt(1)
	v_fma_f64 v[18:19], v[6:7], v[16:17], v[10:11]
.LBB39_9:                               ;   Parent Loop BB39_7 Depth=1
                                        ; =>  This Inner Loop Header: Depth=2
	s_waitcnt vmcnt(0)
	v_add_f64 v[0:1], v[2:3], v[18:19]
	global_atomic_cmpswap_x2 v[0:1], v[14:15], v[0:3], off glc
	s_waitcnt vmcnt(0)
	v_cmp_eq_u64_e32 vcc, v[0:1], v[2:3]
	s_or_b64 s[22:23], vcc, s[22:23]
	v_pk_mov_b32 v[2:3], v[0:1], v[0:1] op_sel:[0,1]
	s_andn2_b64 exec, exec, s[22:23]
	s_cbranch_execnz .LBB39_9
; %bb.10:                               ;   in Loop: Header=BB39_7 Depth=1
	s_or_b64 exec, exec, s[22:23]
	global_load_dwordx2 v[2:3], v[14:15], off offset:8
	v_fma_f64 v[16:17], v[8:9], v[16:17], v[12:13]
	s_mov_b64 s[22:23], 0
.LBB39_11:                              ;   Parent Loop BB39_7 Depth=1
                                        ; =>  This Inner Loop Header: Depth=2
	s_waitcnt vmcnt(0)
	v_add_f64 v[0:1], v[2:3], v[16:17]
	global_atomic_cmpswap_x2 v[0:1], v[14:15], v[0:3], off offset:8 glc
	s_waitcnt vmcnt(0)
	v_cmp_eq_u64_e32 vcc, v[0:1], v[2:3]
	s_or_b64 s[22:23], vcc, s[22:23]
	v_pk_mov_b32 v[2:3], v[0:1], v[0:1] op_sel:[0,1]
	s_andn2_b64 exec, exec, s[22:23]
	s_cbranch_execnz .LBB39_11
; %bb.12:                               ;   in Loop: Header=BB39_7 Depth=1
	s_or_b64 exec, exec, s[22:23]
	s_add_u32 s20, s20, 1
	s_addc_u32 s21, s21, 0
	s_cmp_eq_u64 s[20:21], s[16:17]
	s_cselect_b64 s[22:23], -1, 0
	s_andn2_b64 s[18:19], s[18:19], exec
	s_and_b64 s[22:23], s[22:23], exec
	s_or_b64 s[18:19], s[18:19], s[22:23]
	s_branch .LBB39_6
.LBB39_13:
	s_endpgm
	.section	.rodata,"a",@progbits
	.p2align	6, 0x0
	.amdhsa_kernel _ZN9rocsparseL13ellmvt_kernelILj1024Eld21rocsparse_complex_numIdES2_S2_EEv20rocsparse_operation_T0_S4_S4_NS_24const_host_device_scalarIT4_EEPKS4_PKT1_PKT2_PT3_21rocsparse_index_base_b
		.amdhsa_group_segment_fixed_size 8192
		.amdhsa_private_segment_fixed_size 0
		.amdhsa_kernarg_size 88
		.amdhsa_user_sgpr_count 8
		.amdhsa_user_sgpr_private_segment_buffer 1
		.amdhsa_user_sgpr_dispatch_ptr 1
		.amdhsa_user_sgpr_queue_ptr 0
		.amdhsa_user_sgpr_kernarg_segment_ptr 1
		.amdhsa_user_sgpr_dispatch_id 0
		.amdhsa_user_sgpr_flat_scratch_init 0
		.amdhsa_user_sgpr_kernarg_preload_length 0
		.amdhsa_user_sgpr_kernarg_preload_offset 0
		.amdhsa_user_sgpr_private_segment_size 0
		.amdhsa_uses_dynamic_stack 0
		.amdhsa_system_sgpr_private_segment_wavefront_offset 0
		.amdhsa_system_sgpr_workgroup_id_x 1
		.amdhsa_system_sgpr_workgroup_id_y 0
		.amdhsa_system_sgpr_workgroup_id_z 0
		.amdhsa_system_sgpr_workgroup_info 0
		.amdhsa_system_vgpr_workitem_id 2
		.amdhsa_next_free_vgpr 23
		.amdhsa_next_free_sgpr 24
		.amdhsa_accum_offset 24
		.amdhsa_reserve_vcc 1
		.amdhsa_reserve_flat_scratch 0
		.amdhsa_float_round_mode_32 0
		.amdhsa_float_round_mode_16_64 0
		.amdhsa_float_denorm_mode_32 3
		.amdhsa_float_denorm_mode_16_64 3
		.amdhsa_dx10_clamp 1
		.amdhsa_ieee_mode 1
		.amdhsa_fp16_overflow 0
		.amdhsa_tg_split 0
		.amdhsa_exception_fp_ieee_invalid_op 0
		.amdhsa_exception_fp_denorm_src 0
		.amdhsa_exception_fp_ieee_div_zero 0
		.amdhsa_exception_fp_ieee_overflow 0
		.amdhsa_exception_fp_ieee_underflow 0
		.amdhsa_exception_fp_ieee_inexact 0
		.amdhsa_exception_int_div_zero 0
	.end_amdhsa_kernel
	.section	.text._ZN9rocsparseL13ellmvt_kernelILj1024Eld21rocsparse_complex_numIdES2_S2_EEv20rocsparse_operation_T0_S4_S4_NS_24const_host_device_scalarIT4_EEPKS4_PKT1_PKT2_PT3_21rocsparse_index_base_b,"axG",@progbits,_ZN9rocsparseL13ellmvt_kernelILj1024Eld21rocsparse_complex_numIdES2_S2_EEv20rocsparse_operation_T0_S4_S4_NS_24const_host_device_scalarIT4_EEPKS4_PKT1_PKT2_PT3_21rocsparse_index_base_b,comdat
.Lfunc_end39:
	.size	_ZN9rocsparseL13ellmvt_kernelILj1024Eld21rocsparse_complex_numIdES2_S2_EEv20rocsparse_operation_T0_S4_S4_NS_24const_host_device_scalarIT4_EEPKS4_PKT1_PKT2_PT3_21rocsparse_index_base_b, .Lfunc_end39-_ZN9rocsparseL13ellmvt_kernelILj1024Eld21rocsparse_complex_numIdES2_S2_EEv20rocsparse_operation_T0_S4_S4_NS_24const_host_device_scalarIT4_EEPKS4_PKT1_PKT2_PT3_21rocsparse_index_base_b
                                        ; -- End function
	.section	.AMDGPU.csdata,"",@progbits
; Kernel info:
; codeLenInByte = 704
; NumSgprs: 28
; NumVgprs: 23
; NumAgprs: 0
; TotalNumVgprs: 23
; ScratchSize: 0
; MemoryBound: 0
; FloatMode: 240
; IeeeMode: 1
; LDSByteSize: 8192 bytes/workgroup (compile time only)
; SGPRBlocks: 3
; VGPRBlocks: 2
; NumSGPRsForWavesPerEU: 28
; NumVGPRsForWavesPerEU: 23
; AccumOffset: 24
; Occupancy: 8
; WaveLimiterHint : 1
; COMPUTE_PGM_RSRC2:SCRATCH_EN: 0
; COMPUTE_PGM_RSRC2:USER_SGPR: 8
; COMPUTE_PGM_RSRC2:TRAP_HANDLER: 0
; COMPUTE_PGM_RSRC2:TGID_X_EN: 1
; COMPUTE_PGM_RSRC2:TGID_Y_EN: 0
; COMPUTE_PGM_RSRC2:TGID_Z_EN: 0
; COMPUTE_PGM_RSRC2:TIDIG_COMP_CNT: 2
; COMPUTE_PGM_RSRC3_GFX90A:ACCUM_OFFSET: 5
; COMPUTE_PGM_RSRC3_GFX90A:TG_SPLIT: 0
	.section	.text._ZN9rocsparseL13ellmvn_kernelILj512EifdddEEvT0_S1_S1_NS_24const_host_device_scalarIT4_EEPKS1_PKT1_PKT2_S4_PT3_21rocsparse_index_base_b,"axG",@progbits,_ZN9rocsparseL13ellmvn_kernelILj512EifdddEEvT0_S1_S1_NS_24const_host_device_scalarIT4_EEPKS1_PKT1_PKT2_S4_PT3_21rocsparse_index_base_b,comdat
	.globl	_ZN9rocsparseL13ellmvn_kernelILj512EifdddEEvT0_S1_S1_NS_24const_host_device_scalarIT4_EEPKS1_PKT1_PKT2_S4_PT3_21rocsparse_index_base_b ; -- Begin function _ZN9rocsparseL13ellmvn_kernelILj512EifdddEEvT0_S1_S1_NS_24const_host_device_scalarIT4_EEPKS1_PKT1_PKT2_S4_PT3_21rocsparse_index_base_b
	.p2align	8
	.type	_ZN9rocsparseL13ellmvn_kernelILj512EifdddEEvT0_S1_S1_NS_24const_host_device_scalarIT4_EEPKS1_PKT1_PKT2_S4_PT3_21rocsparse_index_base_b,@function
_ZN9rocsparseL13ellmvn_kernelILj512EifdddEEvT0_S1_S1_NS_24const_host_device_scalarIT4_EEPKS1_PKT1_PKT2_S4_PT3_21rocsparse_index_base_b: ; @_ZN9rocsparseL13ellmvn_kernelILj512EifdddEEvT0_S1_S1_NS_24const_host_device_scalarIT4_EEPKS1_PKT1_PKT2_S4_PT3_21rocsparse_index_base_b
; %bb.0:
	s_load_dwordx2 s[16:17], s[4:5], 0x40
	s_load_dwordx2 s[8:9], s[4:5], 0x10
	;; [unrolled: 1-line block ×3, first 2 shown]
	s_waitcnt lgkmcnt(0)
	s_bitcmp1_b32 s17, 0
	s_cselect_b64 s[10:11], -1, 0
	s_xor_b64 s[2:3], s[10:11], -1
	s_and_b64 vcc, exec, s[10:11]
	v_pk_mov_b32 v[2:3], s[8:9], s[8:9] op_sel:[0,1]
	s_cbranch_vccnz .LBB40_2
; %bb.1:
	v_pk_mov_b32 v[2:3], s[8:9], s[8:9] op_sel:[0,1]
	flat_load_dwordx2 v[2:3], v[2:3]
.LBB40_2:
	s_andn2_b64 vcc, exec, s[2:3]
	v_pk_mov_b32 v[4:5], s[0:1], s[0:1] op_sel:[0,1]
	s_cbranch_vccnz .LBB40_4
; %bb.3:
	v_pk_mov_b32 v[4:5], s[0:1], s[0:1] op_sel:[0,1]
	flat_load_dwordx2 v[4:5], v[4:5]
.LBB40_4:
	s_waitcnt vmcnt(0) lgkmcnt(0)
	v_cmp_neq_f64_e32 vcc, 0, v[2:3]
	v_cmp_neq_f64_e64 s[0:1], 1.0, v[4:5]
	s_or_b64 s[0:1], vcc, s[0:1]
	s_and_saveexec_b64 s[2:3], s[0:1]
	s_cbranch_execz .LBB40_15
; %bb.5:
	s_load_dwordx4 s[8:11], s[4:5], 0x0
	v_lshl_or_b32 v0, s6, 9, v0
	s_waitcnt lgkmcnt(0)
	v_cmp_gt_i32_e32 vcc, s8, v0
	s_and_b64 exec, exec, vcc
	s_cbranch_execz .LBB40_15
; %bb.6:
	s_load_dwordx2 s[2:3], s[4:5], 0x38
	s_cmp_lt_i32 s10, 1
	v_ashrrev_i32_e32 v1, 31, v0
	s_cbranch_scc1 .LBB40_16
; %bb.7:
	s_load_dwordx4 s[12:15], s[4:5], 0x18
	s_load_dwordx2 s[6:7], s[4:5], 0x28
	s_ashr_i32 s1, s8, 31
	s_mov_b32 s0, s8
	s_add_i32 s8, s10, -1
	s_lshl_b64 s[10:11], s[0:1], 2
	v_lshlrev_b64 v[8:9], 2, v[0:1]
	s_mov_b64 s[4:5], 0
	v_pk_mov_b32 v[6:7], 0, 0
	s_waitcnt lgkmcnt(0)
	v_mov_b32_e32 v12, s13
	v_mov_b32_e32 v11, 0
	;; [unrolled: 1-line block ×3, first 2 shown]
	s_branch .LBB40_9
.LBB40_8:                               ;   in Loop: Header=BB40_9 Depth=1
	s_or_b64 exec, exec, s[18:19]
	s_cmp_eq_u32 s8, 0
	s_cselect_b64 s[18:19], -1, 0
	s_or_b64 s[0:1], s[0:1], s[18:19]
	s_add_i32 s8, s8, -1
	s_and_b64 s[0:1], exec, s[0:1]
	v_add_co_u32_e32 v8, vcc, s10, v8
	s_or_b64 s[4:5], s[0:1], s[4:5]
	v_addc_co_u32_e32 v9, vcc, v9, v13, vcc
	s_andn2_b64 exec, exec, s[4:5]
	s_cbranch_execz .LBB40_11
.LBB40_9:                               ; =>This Inner Loop Header: Depth=1
	v_add_co_u32_e32 v14, vcc, s12, v8
	v_addc_co_u32_e32 v15, vcc, v12, v9, vcc
	global_load_dword v10, v[14:15], off glc slc
	s_waitcnt vmcnt(0)
	v_subrev_u32_e32 v10, s16, v10
	v_cmp_gt_i32_e32 vcc, 0, v10
	v_cmp_le_i32_e64 s[0:1], s9, v10
	s_or_b64 s[0:1], vcc, s[0:1]
	s_xor_b64 s[20:21], s[0:1], -1
	s_and_saveexec_b64 s[18:19], s[20:21]
	s_cbranch_execz .LBB40_8
; %bb.10:                               ;   in Loop: Header=BB40_9 Depth=1
	v_mov_b32_e32 v15, s15
	v_add_co_u32_e32 v14, vcc, s14, v8
	v_addc_co_u32_e32 v15, vcc, v15, v9, vcc
	v_lshlrev_b64 v[16:17], 3, v[10:11]
	v_mov_b32_e32 v10, s7
	v_add_co_u32_e32 v16, vcc, s6, v16
	v_addc_co_u32_e32 v17, vcc, v10, v17, vcc
	global_load_dword v10, v[14:15], off glc slc
	global_load_dwordx2 v[18:19], v[16:17], off
	s_waitcnt vmcnt(1)
	v_cvt_f64_f32_e32 v[14:15], v10
	s_waitcnt vmcnt(0)
	v_fmac_f64_e32 v[6:7], v[14:15], v[18:19]
	s_branch .LBB40_8
.LBB40_11:
	s_or_b64 exec, exec, s[4:5]
	v_cmp_eq_f64_e32 vcc, 0, v[4:5]
	s_and_saveexec_b64 s[0:1], vcc
	s_xor_b64 s[0:1], exec, s[0:1]
	s_cbranch_execz .LBB40_13
.LBB40_12:
	v_lshlrev_b64 v[0:1], 3, v[0:1]
	s_waitcnt lgkmcnt(0)
	v_mov_b32_e32 v4, s3
	v_add_co_u32_e32 v0, vcc, s2, v0
	v_mul_f64 v[2:3], v[2:3], v[6:7]
	v_addc_co_u32_e32 v1, vcc, v4, v1, vcc
	global_store_dwordx2 v[0:1], v[2:3], off glc slc
                                        ; implicit-def: $vgpr0
                                        ; implicit-def: $vgpr2_vgpr3
                                        ; implicit-def: $vgpr6_vgpr7
                                        ; implicit-def: $vgpr4_vgpr5
.LBB40_13:
	s_andn2_saveexec_b64 s[0:1], s[0:1]
	s_cbranch_execz .LBB40_15
; %bb.14:
	v_lshlrev_b64 v[0:1], 3, v[0:1]
	s_waitcnt lgkmcnt(0)
	v_mov_b32_e32 v8, s3
	v_add_co_u32_e32 v0, vcc, s2, v0
	v_addc_co_u32_e32 v1, vcc, v8, v1, vcc
	global_load_dwordx2 v[8:9], v[0:1], off glc slc
	v_mul_f64 v[2:3], v[2:3], v[6:7]
	s_waitcnt vmcnt(0)
	v_fmac_f64_e32 v[2:3], v[4:5], v[8:9]
	global_store_dwordx2 v[0:1], v[2:3], off glc slc
.LBB40_15:
	s_endpgm
.LBB40_16:
	v_pk_mov_b32 v[6:7], 0, 0
	v_cmp_eq_f64_e32 vcc, 0, v[4:5]
	s_and_saveexec_b64 s[0:1], vcc
	s_xor_b64 s[0:1], exec, s[0:1]
	s_cbranch_execnz .LBB40_12
	s_branch .LBB40_13
	.section	.rodata,"a",@progbits
	.p2align	6, 0x0
	.amdhsa_kernel _ZN9rocsparseL13ellmvn_kernelILj512EifdddEEvT0_S1_S1_NS_24const_host_device_scalarIT4_EEPKS1_PKT1_PKT2_S4_PT3_21rocsparse_index_base_b
		.amdhsa_group_segment_fixed_size 0
		.amdhsa_private_segment_fixed_size 0
		.amdhsa_kernarg_size 72
		.amdhsa_user_sgpr_count 6
		.amdhsa_user_sgpr_private_segment_buffer 1
		.amdhsa_user_sgpr_dispatch_ptr 0
		.amdhsa_user_sgpr_queue_ptr 0
		.amdhsa_user_sgpr_kernarg_segment_ptr 1
		.amdhsa_user_sgpr_dispatch_id 0
		.amdhsa_user_sgpr_flat_scratch_init 0
		.amdhsa_user_sgpr_kernarg_preload_length 0
		.amdhsa_user_sgpr_kernarg_preload_offset 0
		.amdhsa_user_sgpr_private_segment_size 0
		.amdhsa_uses_dynamic_stack 0
		.amdhsa_system_sgpr_private_segment_wavefront_offset 0
		.amdhsa_system_sgpr_workgroup_id_x 1
		.amdhsa_system_sgpr_workgroup_id_y 0
		.amdhsa_system_sgpr_workgroup_id_z 0
		.amdhsa_system_sgpr_workgroup_info 0
		.amdhsa_system_vgpr_workitem_id 0
		.amdhsa_next_free_vgpr 20
		.amdhsa_next_free_sgpr 22
		.amdhsa_accum_offset 20
		.amdhsa_reserve_vcc 1
		.amdhsa_reserve_flat_scratch 0
		.amdhsa_float_round_mode_32 0
		.amdhsa_float_round_mode_16_64 0
		.amdhsa_float_denorm_mode_32 3
		.amdhsa_float_denorm_mode_16_64 3
		.amdhsa_dx10_clamp 1
		.amdhsa_ieee_mode 1
		.amdhsa_fp16_overflow 0
		.amdhsa_tg_split 0
		.amdhsa_exception_fp_ieee_invalid_op 0
		.amdhsa_exception_fp_denorm_src 0
		.amdhsa_exception_fp_ieee_div_zero 0
		.amdhsa_exception_fp_ieee_overflow 0
		.amdhsa_exception_fp_ieee_underflow 0
		.amdhsa_exception_fp_ieee_inexact 0
		.amdhsa_exception_int_div_zero 0
	.end_amdhsa_kernel
	.section	.text._ZN9rocsparseL13ellmvn_kernelILj512EifdddEEvT0_S1_S1_NS_24const_host_device_scalarIT4_EEPKS1_PKT1_PKT2_S4_PT3_21rocsparse_index_base_b,"axG",@progbits,_ZN9rocsparseL13ellmvn_kernelILj512EifdddEEvT0_S1_S1_NS_24const_host_device_scalarIT4_EEPKS1_PKT1_PKT2_S4_PT3_21rocsparse_index_base_b,comdat
.Lfunc_end40:
	.size	_ZN9rocsparseL13ellmvn_kernelILj512EifdddEEvT0_S1_S1_NS_24const_host_device_scalarIT4_EEPKS1_PKT1_PKT2_S4_PT3_21rocsparse_index_base_b, .Lfunc_end40-_ZN9rocsparseL13ellmvn_kernelILj512EifdddEEvT0_S1_S1_NS_24const_host_device_scalarIT4_EEPKS1_PKT1_PKT2_S4_PT3_21rocsparse_index_base_b
                                        ; -- End function
	.section	.AMDGPU.csdata,"",@progbits
; Kernel info:
; codeLenInByte = 576
; NumSgprs: 26
; NumVgprs: 20
; NumAgprs: 0
; TotalNumVgprs: 20
; ScratchSize: 0
; MemoryBound: 0
; FloatMode: 240
; IeeeMode: 1
; LDSByteSize: 0 bytes/workgroup (compile time only)
; SGPRBlocks: 3
; VGPRBlocks: 2
; NumSGPRsForWavesPerEU: 26
; NumVGPRsForWavesPerEU: 20
; AccumOffset: 20
; Occupancy: 8
; WaveLimiterHint : 1
; COMPUTE_PGM_RSRC2:SCRATCH_EN: 0
; COMPUTE_PGM_RSRC2:USER_SGPR: 6
; COMPUTE_PGM_RSRC2:TRAP_HANDLER: 0
; COMPUTE_PGM_RSRC2:TGID_X_EN: 1
; COMPUTE_PGM_RSRC2:TGID_Y_EN: 0
; COMPUTE_PGM_RSRC2:TGID_Z_EN: 0
; COMPUTE_PGM_RSRC2:TIDIG_COMP_CNT: 0
; COMPUTE_PGM_RSRC3_GFX90A:ACCUM_OFFSET: 4
; COMPUTE_PGM_RSRC3_GFX90A:TG_SPLIT: 0
	.section	.text._ZN9rocsparseL13ellmvt_kernelILj1024EifdddEEv20rocsparse_operation_T0_S2_S2_NS_24const_host_device_scalarIT4_EEPKS2_PKT1_PKT2_PT3_21rocsparse_index_base_b,"axG",@progbits,_ZN9rocsparseL13ellmvt_kernelILj1024EifdddEEv20rocsparse_operation_T0_S2_S2_NS_24const_host_device_scalarIT4_EEPKS2_PKT1_PKT2_PT3_21rocsparse_index_base_b,comdat
	.globl	_ZN9rocsparseL13ellmvt_kernelILj1024EifdddEEv20rocsparse_operation_T0_S2_S2_NS_24const_host_device_scalarIT4_EEPKS2_PKT1_PKT2_PT3_21rocsparse_index_base_b ; -- Begin function _ZN9rocsparseL13ellmvt_kernelILj1024EifdddEEv20rocsparse_operation_T0_S2_S2_NS_24const_host_device_scalarIT4_EEPKS2_PKT1_PKT2_PT3_21rocsparse_index_base_b
	.p2align	8
	.type	_ZN9rocsparseL13ellmvt_kernelILj1024EifdddEEv20rocsparse_operation_T0_S2_S2_NS_24const_host_device_scalarIT4_EEPKS2_PKT1_PKT2_PT3_21rocsparse_index_base_b,@function
_ZN9rocsparseL13ellmvt_kernelILj1024EifdddEEv20rocsparse_operation_T0_S2_S2_NS_24const_host_device_scalarIT4_EEPKS2_PKT1_PKT2_PT3_21rocsparse_index_base_b: ; @_ZN9rocsparseL13ellmvt_kernelILj1024EifdddEEv20rocsparse_operation_T0_S2_S2_NS_24const_host_device_scalarIT4_EEPKS2_PKT1_PKT2_PT3_21rocsparse_index_base_b
; %bb.0:
	s_load_dwordx2 s[2:3], s[4:5], 0x38
	s_load_dwordx2 s[0:1], s[4:5], 0x10
	s_waitcnt lgkmcnt(0)
	s_bitcmp1_b32 s3, 0
	s_cselect_b64 s[8:9], -1, 0
	s_and_b64 vcc, exec, s[8:9]
	v_pk_mov_b32 v[2:3], s[0:1], s[0:1] op_sel:[0,1]
	s_cbranch_vccnz .LBB41_2
; %bb.1:
	v_pk_mov_b32 v[2:3], s[0:1], s[0:1] op_sel:[0,1]
	flat_load_dwordx2 v[2:3], v[2:3]
.LBB41_2:
	s_waitcnt vmcnt(0) lgkmcnt(0)
	v_cmp_neq_f64_e32 vcc, 0, v[2:3]
	s_and_saveexec_b64 s[0:1], vcc
	s_cbranch_execz .LBB41_11
; %bb.3:
	s_load_dwordx4 s[12:15], s[4:5], 0x4
	v_lshl_or_b32 v4, s6, 10, v0
	s_waitcnt lgkmcnt(0)
	v_cmp_gt_i32_e32 vcc, s12, v4
	s_and_b64 exec, exec, vcc
	s_cbranch_execz .LBB41_11
; %bb.4:
	s_cmp_lt_i32 s14, 1
	s_cbranch_scc1 .LBB41_11
; %bb.5:
	s_load_dwordx8 s[4:11], s[4:5], 0x18
	v_ashrrev_i32_e32 v5, 31, v4
	v_lshlrev_b64 v[0:1], 3, v[4:5]
	s_mov_b32 s0, s12
	s_ashr_i32 s3, s12, 31
	s_waitcnt lgkmcnt(0)
	v_mov_b32_e32 v6, s9
	v_add_co_u32_e32 v0, vcc, s8, v0
	v_addc_co_u32_e32 v1, vcc, v6, v1, vcc
	global_load_dwordx2 v[0:1], v[0:1], off
	s_mov_b32 s12, 0
	s_mov_b64 s[8:9], 0
	v_mov_b32_e32 v14, s0
	v_mov_b32_e32 v15, s5
	;; [unrolled: 1-line block ×3, first 2 shown]
                                        ; implicit-def: $sgpr16_sgpr17
	s_waitcnt vmcnt(0)
	v_mul_f64 v[6:7], v[2:3], v[0:1]
	s_branch .LBB41_7
.LBB41_6:                               ;   in Loop: Header=BB41_7 Depth=1
	s_or_b64 exec, exec, s[0:1]
	s_and_b64 s[0:1], exec, s[16:17]
	s_or_b64 s[8:9], s[0:1], s[8:9]
	s_andn2_b64 exec, exec, s[8:9]
	s_cbranch_execz .LBB41_11
.LBB41_7:                               ; =>This Loop Header: Depth=1
                                        ;     Child Loop BB41_9 Depth 2
	v_mad_u64_u32 v[0:1], s[0:1], s12, v14, v[4:5]
	s_mul_i32 s0, s12, s3
	v_add_u32_e32 v1, s0, v1
	v_lshlrev_b64 v[0:1], 2, v[0:1]
	v_add_co_u32_e32 v2, vcc, s4, v0
	v_addc_co_u32_e32 v3, vcc, v15, v1, vcc
	global_load_dword v2, v[2:3], off glc slc
	s_or_b64 s[16:17], s[16:17], exec
	s_waitcnt vmcnt(0)
	v_subrev_u32_e32 v8, s2, v2
	v_cmp_lt_i32_e32 vcc, -1, v8
	v_cmp_gt_i32_e64 s[0:1], s13, v8
	s_and_b64 s[18:19], vcc, s[0:1]
	s_and_saveexec_b64 s[0:1], s[18:19]
	s_cbranch_execz .LBB41_6
; %bb.8:                                ;   in Loop: Header=BB41_7 Depth=1
	v_mov_b32_e32 v2, s7
	v_add_co_u32_e32 v0, vcc, s6, v0
	v_addc_co_u32_e32 v1, vcc, v2, v1, vcc
	global_load_dword v12, v[0:1], off glc slc
	v_lshlrev_b64 v[0:1], 3, v[8:9]
	v_mov_b32_e32 v2, s11
	v_add_co_u32_e32 v10, vcc, s10, v0
	v_addc_co_u32_e32 v11, vcc, v2, v1, vcc
	global_load_dwordx2 v[2:3], v[10:11], off
	s_mov_b64 s[18:19], 0
	s_waitcnt vmcnt(1)
	v_cvt_f64_f32_e32 v[0:1], v12
	v_mul_f64 v[12:13], v[6:7], v[0:1]
.LBB41_9:                               ;   Parent Loop BB41_7 Depth=1
                                        ; =>  This Inner Loop Header: Depth=2
	s_waitcnt vmcnt(0)
	v_add_f64 v[0:1], v[2:3], v[12:13]
	global_atomic_cmpswap_x2 v[0:1], v[10:11], v[0:3], off glc
	s_waitcnt vmcnt(0)
	v_cmp_eq_u64_e32 vcc, v[0:1], v[2:3]
	s_or_b64 s[18:19], vcc, s[18:19]
	v_pk_mov_b32 v[2:3], v[0:1], v[0:1] op_sel:[0,1]
	s_andn2_b64 exec, exec, s[18:19]
	s_cbranch_execnz .LBB41_9
; %bb.10:                               ;   in Loop: Header=BB41_7 Depth=1
	s_or_b64 exec, exec, s[18:19]
	s_add_i32 s12, s12, 1
	s_cmp_eq_u32 s12, s14
	s_cselect_b64 s[18:19], -1, 0
	s_andn2_b64 s[16:17], s[16:17], exec
	s_and_b64 s[18:19], s[18:19], exec
	s_or_b64 s[16:17], s[16:17], s[18:19]
	s_branch .LBB41_6
.LBB41_11:
	s_endpgm
	.section	.rodata,"a",@progbits
	.p2align	6, 0x0
	.amdhsa_kernel _ZN9rocsparseL13ellmvt_kernelILj1024EifdddEEv20rocsparse_operation_T0_S2_S2_NS_24const_host_device_scalarIT4_EEPKS2_PKT1_PKT2_PT3_21rocsparse_index_base_b
		.amdhsa_group_segment_fixed_size 0
		.amdhsa_private_segment_fixed_size 0
		.amdhsa_kernarg_size 64
		.amdhsa_user_sgpr_count 6
		.amdhsa_user_sgpr_private_segment_buffer 1
		.amdhsa_user_sgpr_dispatch_ptr 0
		.amdhsa_user_sgpr_queue_ptr 0
		.amdhsa_user_sgpr_kernarg_segment_ptr 1
		.amdhsa_user_sgpr_dispatch_id 0
		.amdhsa_user_sgpr_flat_scratch_init 0
		.amdhsa_user_sgpr_kernarg_preload_length 0
		.amdhsa_user_sgpr_kernarg_preload_offset 0
		.amdhsa_user_sgpr_private_segment_size 0
		.amdhsa_uses_dynamic_stack 0
		.amdhsa_system_sgpr_private_segment_wavefront_offset 0
		.amdhsa_system_sgpr_workgroup_id_x 1
		.amdhsa_system_sgpr_workgroup_id_y 0
		.amdhsa_system_sgpr_workgroup_id_z 0
		.amdhsa_system_sgpr_workgroup_info 0
		.amdhsa_system_vgpr_workitem_id 0
		.amdhsa_next_free_vgpr 16
		.amdhsa_next_free_sgpr 20
		.amdhsa_accum_offset 16
		.amdhsa_reserve_vcc 1
		.amdhsa_reserve_flat_scratch 0
		.amdhsa_float_round_mode_32 0
		.amdhsa_float_round_mode_16_64 0
		.amdhsa_float_denorm_mode_32 3
		.amdhsa_float_denorm_mode_16_64 3
		.amdhsa_dx10_clamp 1
		.amdhsa_ieee_mode 1
		.amdhsa_fp16_overflow 0
		.amdhsa_tg_split 0
		.amdhsa_exception_fp_ieee_invalid_op 0
		.amdhsa_exception_fp_denorm_src 0
		.amdhsa_exception_fp_ieee_div_zero 0
		.amdhsa_exception_fp_ieee_overflow 0
		.amdhsa_exception_fp_ieee_underflow 0
		.amdhsa_exception_fp_ieee_inexact 0
		.amdhsa_exception_int_div_zero 0
	.end_amdhsa_kernel
	.section	.text._ZN9rocsparseL13ellmvt_kernelILj1024EifdddEEv20rocsparse_operation_T0_S2_S2_NS_24const_host_device_scalarIT4_EEPKS2_PKT1_PKT2_PT3_21rocsparse_index_base_b,"axG",@progbits,_ZN9rocsparseL13ellmvt_kernelILj1024EifdddEEv20rocsparse_operation_T0_S2_S2_NS_24const_host_device_scalarIT4_EEPKS2_PKT1_PKT2_PT3_21rocsparse_index_base_b,comdat
.Lfunc_end41:
	.size	_ZN9rocsparseL13ellmvt_kernelILj1024EifdddEEv20rocsparse_operation_T0_S2_S2_NS_24const_host_device_scalarIT4_EEPKS2_PKT1_PKT2_PT3_21rocsparse_index_base_b, .Lfunc_end41-_ZN9rocsparseL13ellmvt_kernelILj1024EifdddEEv20rocsparse_operation_T0_S2_S2_NS_24const_host_device_scalarIT4_EEPKS2_PKT1_PKT2_PT3_21rocsparse_index_base_b
                                        ; -- End function
	.section	.AMDGPU.csdata,"",@progbits
; Kernel info:
; codeLenInByte = 452
; NumSgprs: 24
; NumVgprs: 16
; NumAgprs: 0
; TotalNumVgprs: 16
; ScratchSize: 0
; MemoryBound: 0
; FloatMode: 240
; IeeeMode: 1
; LDSByteSize: 0 bytes/workgroup (compile time only)
; SGPRBlocks: 2
; VGPRBlocks: 1
; NumSGPRsForWavesPerEU: 24
; NumVGPRsForWavesPerEU: 16
; AccumOffset: 16
; Occupancy: 8
; WaveLimiterHint : 1
; COMPUTE_PGM_RSRC2:SCRATCH_EN: 0
; COMPUTE_PGM_RSRC2:USER_SGPR: 6
; COMPUTE_PGM_RSRC2:TRAP_HANDLER: 0
; COMPUTE_PGM_RSRC2:TGID_X_EN: 1
; COMPUTE_PGM_RSRC2:TGID_Y_EN: 0
; COMPUTE_PGM_RSRC2:TGID_Z_EN: 0
; COMPUTE_PGM_RSRC2:TIDIG_COMP_CNT: 0
; COMPUTE_PGM_RSRC3_GFX90A:ACCUM_OFFSET: 3
; COMPUTE_PGM_RSRC3_GFX90A:TG_SPLIT: 0
	.section	.text._ZN9rocsparseL13ellmvn_kernelILj512ElfdddEEvT0_S1_S1_NS_24const_host_device_scalarIT4_EEPKS1_PKT1_PKT2_S4_PT3_21rocsparse_index_base_b,"axG",@progbits,_ZN9rocsparseL13ellmvn_kernelILj512ElfdddEEvT0_S1_S1_NS_24const_host_device_scalarIT4_EEPKS1_PKT1_PKT2_S4_PT3_21rocsparse_index_base_b,comdat
	.globl	_ZN9rocsparseL13ellmvn_kernelILj512ElfdddEEvT0_S1_S1_NS_24const_host_device_scalarIT4_EEPKS1_PKT1_PKT2_S4_PT3_21rocsparse_index_base_b ; -- Begin function _ZN9rocsparseL13ellmvn_kernelILj512ElfdddEEvT0_S1_S1_NS_24const_host_device_scalarIT4_EEPKS1_PKT1_PKT2_S4_PT3_21rocsparse_index_base_b
	.p2align	8
	.type	_ZN9rocsparseL13ellmvn_kernelILj512ElfdddEEvT0_S1_S1_NS_24const_host_device_scalarIT4_EEPKS1_PKT1_PKT2_S4_PT3_21rocsparse_index_base_b,@function
_ZN9rocsparseL13ellmvn_kernelILj512ElfdddEEvT0_S1_S1_NS_24const_host_device_scalarIT4_EEPKS1_PKT1_PKT2_S4_PT3_21rocsparse_index_base_b: ; @_ZN9rocsparseL13ellmvn_kernelILj512ElfdddEEvT0_S1_S1_NS_24const_host_device_scalarIT4_EEPKS1_PKT1_PKT2_S4_PT3_21rocsparse_index_base_b
; %bb.0:
	s_load_dwordx2 s[2:3], s[4:5], 0x48
	s_load_dwordx2 s[0:1], s[4:5], 0x38
	s_load_dwordx8 s[8:15], s[4:5], 0x0
	s_waitcnt lgkmcnt(0)
	s_bitcmp1_b32 s3, 0
	s_cselect_b64 s[18:19], -1, 0
	s_xor_b64 s[16:17], s[18:19], -1
	s_and_b64 vcc, exec, s[18:19]
	v_pk_mov_b32 v[2:3], s[14:15], s[14:15] op_sel:[0,1]
	s_cbranch_vccnz .LBB42_2
; %bb.1:
	v_pk_mov_b32 v[2:3], s[14:15], s[14:15] op_sel:[0,1]
	flat_load_dwordx2 v[2:3], v[2:3]
.LBB42_2:
	s_andn2_b64 vcc, exec, s[16:17]
	v_pk_mov_b32 v[4:5], s[0:1], s[0:1] op_sel:[0,1]
	s_cbranch_vccnz .LBB42_4
; %bb.3:
	v_pk_mov_b32 v[4:5], s[0:1], s[0:1] op_sel:[0,1]
	flat_load_dwordx2 v[4:5], v[4:5]
.LBB42_4:
	s_waitcnt vmcnt(0) lgkmcnt(0)
	v_cmp_neq_f64_e32 vcc, 0, v[2:3]
	v_cmp_neq_f64_e64 s[0:1], 1.0, v[4:5]
	s_or_b64 s[0:1], vcc, s[0:1]
	s_and_saveexec_b64 s[14:15], s[0:1]
	s_cbranch_execz .LBB42_15
; %bb.5:
	v_lshl_or_b32 v6, s6, 9, v0
	v_mov_b32_e32 v7, 0
	v_cmp_gt_i64_e32 vcc, s[8:9], v[6:7]
	s_and_b64 exec, exec, vcc
	s_cbranch_execz .LBB42_15
; %bb.6:
	s_load_dwordx2 s[6:7], s[4:5], 0x40
	v_cmp_lt_i64_e64 s[0:1], s[12:13], 1
	s_and_b64 vcc, exec, s[0:1]
	v_lshlrev_b64 v[0:1], 3, v[6:7]
	s_cbranch_vccnz .LBB42_16
; %bb.7:
	s_load_dwordx4 s[16:19], s[4:5], 0x20
	s_load_dwordx2 s[14:15], s[4:5], 0x30
	s_add_u32 s4, s12, -1
	v_lshlrev_b64 v[6:7], 2, v[6:7]
	s_mov_b32 s0, 0
	s_waitcnt lgkmcnt(0)
	v_mov_b32_e32 v9, s17
	v_add_co_u32_e32 v8, vcc, s16, v0
	v_addc_co_u32_e32 v9, vcc, v9, v1, vcc
	s_addc_u32 s5, s13, -1
	s_lshl_b64 s[12:13], s[8:9], 3
	v_mov_b32_e32 v11, s19
	v_add_co_u32_e32 v10, vcc, s18, v6
	s_lshl_b64 s[16:17], s[8:9], 2
	v_addc_co_u32_e32 v11, vcc, v11, v7, vcc
	s_mov_b64 s[8:9], 0
	v_pk_mov_b32 v[6:7], 0, 0
	v_mov_b32_e32 v14, s0
	v_mov_b32_e32 v15, s13
	;; [unrolled: 1-line block ×3, first 2 shown]
	s_branch .LBB42_9
.LBB42_8:                               ;   in Loop: Header=BB42_9 Depth=1
	s_or_b64 exec, exec, s[18:19]
	s_cmp_eq_u64 s[4:5], 0
	s_cselect_b64 s[18:19], -1, 0
	s_or_b64 s[0:1], s[0:1], s[18:19]
	s_add_u32 s4, s4, -1
	v_add_co_u32_e32 v8, vcc, s12, v8
	s_addc_u32 s5, s5, -1
	v_addc_co_u32_e32 v9, vcc, v9, v15, vcc
	s_and_b64 s[0:1], exec, s[0:1]
	v_add_co_u32_e32 v10, vcc, s16, v10
	s_or_b64 s[8:9], s[0:1], s[8:9]
	v_addc_co_u32_e32 v11, vcc, v11, v16, vcc
	s_andn2_b64 exec, exec, s[8:9]
	s_cbranch_execz .LBB42_11
.LBB42_9:                               ; =>This Inner Loop Header: Depth=1
	global_load_dwordx2 v[12:13], v[8:9], off glc slc
	s_waitcnt vmcnt(0)
	v_subrev_co_u32_e32 v12, vcc, s2, v12
	v_subb_co_u32_e32 v13, vcc, v13, v14, vcc
	v_cmp_gt_i64_e32 vcc, 0, v[12:13]
	v_cmp_le_i64_e64 s[0:1], s[10:11], v[12:13]
	s_or_b64 s[0:1], vcc, s[0:1]
	s_xor_b64 s[20:21], s[0:1], -1
	s_and_saveexec_b64 s[18:19], s[20:21]
	s_cbranch_execz .LBB42_8
; %bb.10:                               ;   in Loop: Header=BB42_9 Depth=1
	v_lshlrev_b64 v[12:13], 3, v[12:13]
	v_mov_b32_e32 v17, s15
	v_add_co_u32_e32 v12, vcc, s14, v12
	v_addc_co_u32_e32 v13, vcc, v17, v13, vcc
	global_load_dword v17, v[10:11], off glc slc
	global_load_dwordx2 v[18:19], v[12:13], off
	s_waitcnt vmcnt(1)
	v_cvt_f64_f32_e32 v[12:13], v17
	s_waitcnt vmcnt(0)
	v_fmac_f64_e32 v[6:7], v[12:13], v[18:19]
	s_branch .LBB42_8
.LBB42_11:
	s_or_b64 exec, exec, s[8:9]
	v_cmp_eq_f64_e32 vcc, 0, v[4:5]
	s_and_saveexec_b64 s[0:1], vcc
	s_xor_b64 s[0:1], exec, s[0:1]
	s_cbranch_execz .LBB42_13
.LBB42_12:
	s_waitcnt lgkmcnt(0)
	v_mov_b32_e32 v4, s7
	v_add_co_u32_e32 v0, vcc, s6, v0
	v_mul_f64 v[2:3], v[2:3], v[6:7]
	v_addc_co_u32_e32 v1, vcc, v4, v1, vcc
	global_store_dwordx2 v[0:1], v[2:3], off glc slc
                                        ; implicit-def: $vgpr0_vgpr1
                                        ; implicit-def: $vgpr2_vgpr3
                                        ; implicit-def: $vgpr6_vgpr7
                                        ; implicit-def: $vgpr4_vgpr5
.LBB42_13:
	s_andn2_saveexec_b64 s[0:1], s[0:1]
	s_cbranch_execz .LBB42_15
; %bb.14:
	s_waitcnt lgkmcnt(0)
	v_mov_b32_e32 v8, s7
	v_add_co_u32_e32 v0, vcc, s6, v0
	v_addc_co_u32_e32 v1, vcc, v8, v1, vcc
	global_load_dwordx2 v[8:9], v[0:1], off glc slc
	v_mul_f64 v[2:3], v[2:3], v[6:7]
	s_waitcnt vmcnt(0)
	v_fmac_f64_e32 v[2:3], v[4:5], v[8:9]
	global_store_dwordx2 v[0:1], v[2:3], off glc slc
.LBB42_15:
	s_endpgm
.LBB42_16:
	v_pk_mov_b32 v[6:7], 0, 0
	v_cmp_eq_f64_e32 vcc, 0, v[4:5]
	s_and_saveexec_b64 s[0:1], vcc
	s_xor_b64 s[0:1], exec, s[0:1]
	s_cbranch_execnz .LBB42_12
	s_branch .LBB42_13
	.section	.rodata,"a",@progbits
	.p2align	6, 0x0
	.amdhsa_kernel _ZN9rocsparseL13ellmvn_kernelILj512ElfdddEEvT0_S1_S1_NS_24const_host_device_scalarIT4_EEPKS1_PKT1_PKT2_S4_PT3_21rocsparse_index_base_b
		.amdhsa_group_segment_fixed_size 0
		.amdhsa_private_segment_fixed_size 0
		.amdhsa_kernarg_size 80
		.amdhsa_user_sgpr_count 6
		.amdhsa_user_sgpr_private_segment_buffer 1
		.amdhsa_user_sgpr_dispatch_ptr 0
		.amdhsa_user_sgpr_queue_ptr 0
		.amdhsa_user_sgpr_kernarg_segment_ptr 1
		.amdhsa_user_sgpr_dispatch_id 0
		.amdhsa_user_sgpr_flat_scratch_init 0
		.amdhsa_user_sgpr_kernarg_preload_length 0
		.amdhsa_user_sgpr_kernarg_preload_offset 0
		.amdhsa_user_sgpr_private_segment_size 0
		.amdhsa_uses_dynamic_stack 0
		.amdhsa_system_sgpr_private_segment_wavefront_offset 0
		.amdhsa_system_sgpr_workgroup_id_x 1
		.amdhsa_system_sgpr_workgroup_id_y 0
		.amdhsa_system_sgpr_workgroup_id_z 0
		.amdhsa_system_sgpr_workgroup_info 0
		.amdhsa_system_vgpr_workitem_id 0
		.amdhsa_next_free_vgpr 20
		.amdhsa_next_free_sgpr 22
		.amdhsa_accum_offset 20
		.amdhsa_reserve_vcc 1
		.amdhsa_reserve_flat_scratch 0
		.amdhsa_float_round_mode_32 0
		.amdhsa_float_round_mode_16_64 0
		.amdhsa_float_denorm_mode_32 3
		.amdhsa_float_denorm_mode_16_64 3
		.amdhsa_dx10_clamp 1
		.amdhsa_ieee_mode 1
		.amdhsa_fp16_overflow 0
		.amdhsa_tg_split 0
		.amdhsa_exception_fp_ieee_invalid_op 0
		.amdhsa_exception_fp_denorm_src 0
		.amdhsa_exception_fp_ieee_div_zero 0
		.amdhsa_exception_fp_ieee_overflow 0
		.amdhsa_exception_fp_ieee_underflow 0
		.amdhsa_exception_fp_ieee_inexact 0
		.amdhsa_exception_int_div_zero 0
	.end_amdhsa_kernel
	.section	.text._ZN9rocsparseL13ellmvn_kernelILj512ElfdddEEvT0_S1_S1_NS_24const_host_device_scalarIT4_EEPKS1_PKT1_PKT2_S4_PT3_21rocsparse_index_base_b,"axG",@progbits,_ZN9rocsparseL13ellmvn_kernelILj512ElfdddEEvT0_S1_S1_NS_24const_host_device_scalarIT4_EEPKS1_PKT1_PKT2_S4_PT3_21rocsparse_index_base_b,comdat
.Lfunc_end42:
	.size	_ZN9rocsparseL13ellmvn_kernelILj512ElfdddEEvT0_S1_S1_NS_24const_host_device_scalarIT4_EEPKS1_PKT1_PKT2_S4_PT3_21rocsparse_index_base_b, .Lfunc_end42-_ZN9rocsparseL13ellmvn_kernelILj512ElfdddEEvT0_S1_S1_NS_24const_host_device_scalarIT4_EEPKS1_PKT1_PKT2_S4_PT3_21rocsparse_index_base_b
                                        ; -- End function
	.section	.AMDGPU.csdata,"",@progbits
; Kernel info:
; codeLenInByte = 588
; NumSgprs: 26
; NumVgprs: 20
; NumAgprs: 0
; TotalNumVgprs: 20
; ScratchSize: 0
; MemoryBound: 0
; FloatMode: 240
; IeeeMode: 1
; LDSByteSize: 0 bytes/workgroup (compile time only)
; SGPRBlocks: 3
; VGPRBlocks: 2
; NumSGPRsForWavesPerEU: 26
; NumVGPRsForWavesPerEU: 20
; AccumOffset: 20
; Occupancy: 8
; WaveLimiterHint : 1
; COMPUTE_PGM_RSRC2:SCRATCH_EN: 0
; COMPUTE_PGM_RSRC2:USER_SGPR: 6
; COMPUTE_PGM_RSRC2:TRAP_HANDLER: 0
; COMPUTE_PGM_RSRC2:TGID_X_EN: 1
; COMPUTE_PGM_RSRC2:TGID_Y_EN: 0
; COMPUTE_PGM_RSRC2:TGID_Z_EN: 0
; COMPUTE_PGM_RSRC2:TIDIG_COMP_CNT: 0
; COMPUTE_PGM_RSRC3_GFX90A:ACCUM_OFFSET: 4
; COMPUTE_PGM_RSRC3_GFX90A:TG_SPLIT: 0
	.section	.text._ZN9rocsparseL13ellmvt_kernelILj1024ElfdddEEv20rocsparse_operation_T0_S2_S2_NS_24const_host_device_scalarIT4_EEPKS2_PKT1_PKT2_PT3_21rocsparse_index_base_b,"axG",@progbits,_ZN9rocsparseL13ellmvt_kernelILj1024ElfdddEEv20rocsparse_operation_T0_S2_S2_NS_24const_host_device_scalarIT4_EEPKS2_PKT1_PKT2_PT3_21rocsparse_index_base_b,comdat
	.globl	_ZN9rocsparseL13ellmvt_kernelILj1024ElfdddEEv20rocsparse_operation_T0_S2_S2_NS_24const_host_device_scalarIT4_EEPKS2_PKT1_PKT2_PT3_21rocsparse_index_base_b ; -- Begin function _ZN9rocsparseL13ellmvt_kernelILj1024ElfdddEEv20rocsparse_operation_T0_S2_S2_NS_24const_host_device_scalarIT4_EEPKS2_PKT1_PKT2_PT3_21rocsparse_index_base_b
	.p2align	8
	.type	_ZN9rocsparseL13ellmvt_kernelILj1024ElfdddEEv20rocsparse_operation_T0_S2_S2_NS_24const_host_device_scalarIT4_EEPKS2_PKT1_PKT2_PT3_21rocsparse_index_base_b,@function
_ZN9rocsparseL13ellmvt_kernelILj1024ElfdddEEv20rocsparse_operation_T0_S2_S2_NS_24const_host_device_scalarIT4_EEPKS2_PKT1_PKT2_PT3_21rocsparse_index_base_b: ; @_ZN9rocsparseL13ellmvt_kernelILj1024ElfdddEEv20rocsparse_operation_T0_S2_S2_NS_24const_host_device_scalarIT4_EEPKS2_PKT1_PKT2_PT3_21rocsparse_index_base_b
; %bb.0:
	s_load_dwordx2 s[2:3], s[4:5], 0x48
	s_load_dwordx8 s[8:15], s[4:5], 0x8
	s_waitcnt lgkmcnt(0)
	s_bitcmp1_b32 s3, 0
	s_cselect_b64 s[0:1], -1, 0
	s_and_b64 vcc, exec, s[0:1]
	v_pk_mov_b32 v[2:3], s[14:15], s[14:15] op_sel:[0,1]
	s_cbranch_vccnz .LBB43_2
; %bb.1:
	v_pk_mov_b32 v[2:3], s[14:15], s[14:15] op_sel:[0,1]
	flat_load_dwordx2 v[2:3], v[2:3]
.LBB43_2:
	s_waitcnt vmcnt(0) lgkmcnt(0)
	v_cmp_neq_f64_e32 vcc, 0, v[2:3]
	s_and_saveexec_b64 s[0:1], vcc
	s_cbranch_execz .LBB43_11
; %bb.3:
	v_lshl_or_b32 v4, s6, 10, v0
	v_mov_b32_e32 v5, 0
	v_cmp_gt_i64_e32 vcc, s[8:9], v[4:5]
	s_and_b64 exec, exec, vcc
	s_cbranch_execz .LBB43_11
; %bb.4:
	v_cmp_lt_i64_e64 s[0:1], s[12:13], 1
	s_and_b64 vcc, exec, s[0:1]
	s_cbranch_vccnz .LBB43_11
; %bb.5:
	s_load_dwordx8 s[16:23], s[4:5], 0x28
	v_lshlrev_b64 v[0:1], 3, v[4:5]
	s_mov_b32 s0, 0
	s_mov_b64 s[4:5], 0
	v_mov_b32_e32 v12, s8
	s_waitcnt lgkmcnt(0)
	v_mov_b32_e32 v6, s21
	v_add_co_u32_e32 v0, vcc, s20, v0
	v_addc_co_u32_e32 v1, vcc, v6, v1, vcc
	global_load_dwordx2 v[0:1], v[0:1], off
	v_mov_b32_e32 v13, s0
	v_mov_b32_e32 v14, s17
	s_mov_b64 s[14:15], 0
                                        ; implicit-def: $sgpr6_sgpr7
	s_waitcnt vmcnt(0)
	v_mul_f64 v[6:7], v[2:3], v[0:1]
	s_branch .LBB43_7
.LBB43_6:                               ;   in Loop: Header=BB43_7 Depth=1
	s_or_b64 exec, exec, s[0:1]
	s_and_b64 s[0:1], exec, s[6:7]
	s_or_b64 s[4:5], s[0:1], s[4:5]
	s_andn2_b64 exec, exec, s[4:5]
	s_cbranch_execz .LBB43_11
.LBB43_7:                               ; =>This Loop Header: Depth=1
                                        ;     Child Loop BB43_9 Depth 2
	s_mul_i32 s0, s15, s8
	s_mul_i32 s1, s14, s9
	s_add_i32 s3, s1, s0
	v_mad_u64_u32 v[0:1], s[0:1], s14, v12, v[4:5]
	v_add_u32_e32 v1, s3, v1
	v_lshlrev_b64 v[2:3], 3, v[0:1]
	v_add_co_u32_e32 v2, vcc, s16, v2
	v_addc_co_u32_e32 v3, vcc, v14, v3, vcc
	global_load_dwordx2 v[2:3], v[2:3], off glc slc
	s_or_b64 s[6:7], s[6:7], exec
	s_waitcnt vmcnt(0)
	v_subrev_co_u32_e32 v2, vcc, s2, v2
	v_subb_co_u32_e32 v3, vcc, v3, v13, vcc
	v_cmp_lt_i64_e32 vcc, -1, v[2:3]
	v_cmp_gt_i64_e64 s[0:1], s[10:11], v[2:3]
	s_and_b64 s[20:21], vcc, s[0:1]
	s_and_saveexec_b64 s[0:1], s[20:21]
	s_cbranch_execz .LBB43_6
; %bb.8:                                ;   in Loop: Header=BB43_7 Depth=1
	v_lshlrev_b64 v[0:1], 2, v[0:1]
	v_mov_b32_e32 v8, s19
	v_add_co_u32_e32 v0, vcc, s18, v0
	v_addc_co_u32_e32 v1, vcc, v8, v1, vcc
	global_load_dword v10, v[0:1], off glc slc
	v_lshlrev_b64 v[0:1], 3, v[2:3]
	v_mov_b32_e32 v2, s23
	v_add_co_u32_e32 v8, vcc, s22, v0
	v_addc_co_u32_e32 v9, vcc, v2, v1, vcc
	global_load_dwordx2 v[2:3], v[8:9], off
	s_mov_b64 s[20:21], 0
	s_waitcnt vmcnt(1)
	v_cvt_f64_f32_e32 v[0:1], v10
	v_mul_f64 v[10:11], v[6:7], v[0:1]
.LBB43_9:                               ;   Parent Loop BB43_7 Depth=1
                                        ; =>  This Inner Loop Header: Depth=2
	s_waitcnt vmcnt(0)
	v_add_f64 v[0:1], v[2:3], v[10:11]
	global_atomic_cmpswap_x2 v[0:1], v[8:9], v[0:3], off glc
	s_waitcnt vmcnt(0)
	v_cmp_eq_u64_e32 vcc, v[0:1], v[2:3]
	s_or_b64 s[20:21], vcc, s[20:21]
	v_pk_mov_b32 v[2:3], v[0:1], v[0:1] op_sel:[0,1]
	s_andn2_b64 exec, exec, s[20:21]
	s_cbranch_execnz .LBB43_9
; %bb.10:                               ;   in Loop: Header=BB43_7 Depth=1
	s_or_b64 exec, exec, s[20:21]
	s_add_u32 s14, s14, 1
	s_addc_u32 s15, s15, 0
	s_cmp_eq_u64 s[14:15], s[12:13]
	s_cselect_b64 s[20:21], -1, 0
	s_andn2_b64 s[6:7], s[6:7], exec
	s_and_b64 s[20:21], s[20:21], exec
	s_or_b64 s[6:7], s[6:7], s[20:21]
	s_branch .LBB43_6
.LBB43_11:
	s_endpgm
	.section	.rodata,"a",@progbits
	.p2align	6, 0x0
	.amdhsa_kernel _ZN9rocsparseL13ellmvt_kernelILj1024ElfdddEEv20rocsparse_operation_T0_S2_S2_NS_24const_host_device_scalarIT4_EEPKS2_PKT1_PKT2_PT3_21rocsparse_index_base_b
		.amdhsa_group_segment_fixed_size 0
		.amdhsa_private_segment_fixed_size 0
		.amdhsa_kernarg_size 80
		.amdhsa_user_sgpr_count 6
		.amdhsa_user_sgpr_private_segment_buffer 1
		.amdhsa_user_sgpr_dispatch_ptr 0
		.amdhsa_user_sgpr_queue_ptr 0
		.amdhsa_user_sgpr_kernarg_segment_ptr 1
		.amdhsa_user_sgpr_dispatch_id 0
		.amdhsa_user_sgpr_flat_scratch_init 0
		.amdhsa_user_sgpr_kernarg_preload_length 0
		.amdhsa_user_sgpr_kernarg_preload_offset 0
		.amdhsa_user_sgpr_private_segment_size 0
		.amdhsa_uses_dynamic_stack 0
		.amdhsa_system_sgpr_private_segment_wavefront_offset 0
		.amdhsa_system_sgpr_workgroup_id_x 1
		.amdhsa_system_sgpr_workgroup_id_y 0
		.amdhsa_system_sgpr_workgroup_id_z 0
		.amdhsa_system_sgpr_workgroup_info 0
		.amdhsa_system_vgpr_workitem_id 0
		.amdhsa_next_free_vgpr 15
		.amdhsa_next_free_sgpr 24
		.amdhsa_accum_offset 16
		.amdhsa_reserve_vcc 1
		.amdhsa_reserve_flat_scratch 0
		.amdhsa_float_round_mode_32 0
		.amdhsa_float_round_mode_16_64 0
		.amdhsa_float_denorm_mode_32 3
		.amdhsa_float_denorm_mode_16_64 3
		.amdhsa_dx10_clamp 1
		.amdhsa_ieee_mode 1
		.amdhsa_fp16_overflow 0
		.amdhsa_tg_split 0
		.amdhsa_exception_fp_ieee_invalid_op 0
		.amdhsa_exception_fp_denorm_src 0
		.amdhsa_exception_fp_ieee_div_zero 0
		.amdhsa_exception_fp_ieee_overflow 0
		.amdhsa_exception_fp_ieee_underflow 0
		.amdhsa_exception_fp_ieee_inexact 0
		.amdhsa_exception_int_div_zero 0
	.end_amdhsa_kernel
	.section	.text._ZN9rocsparseL13ellmvt_kernelILj1024ElfdddEEv20rocsparse_operation_T0_S2_S2_NS_24const_host_device_scalarIT4_EEPKS2_PKT1_PKT2_PT3_21rocsparse_index_base_b,"axG",@progbits,_ZN9rocsparseL13ellmvt_kernelILj1024ElfdddEEv20rocsparse_operation_T0_S2_S2_NS_24const_host_device_scalarIT4_EEPKS2_PKT1_PKT2_PT3_21rocsparse_index_base_b,comdat
.Lfunc_end43:
	.size	_ZN9rocsparseL13ellmvt_kernelILj1024ElfdddEEv20rocsparse_operation_T0_S2_S2_NS_24const_host_device_scalarIT4_EEPKS2_PKT1_PKT2_PT3_21rocsparse_index_base_b, .Lfunc_end43-_ZN9rocsparseL13ellmvt_kernelILj1024ElfdddEEv20rocsparse_operation_T0_S2_S2_NS_24const_host_device_scalarIT4_EEPKS2_PKT1_PKT2_PT3_21rocsparse_index_base_b
                                        ; -- End function
	.section	.AMDGPU.csdata,"",@progbits
; Kernel info:
; codeLenInByte = 468
; NumSgprs: 28
; NumVgprs: 15
; NumAgprs: 0
; TotalNumVgprs: 15
; ScratchSize: 0
; MemoryBound: 0
; FloatMode: 240
; IeeeMode: 1
; LDSByteSize: 0 bytes/workgroup (compile time only)
; SGPRBlocks: 3
; VGPRBlocks: 1
; NumSGPRsForWavesPerEU: 28
; NumVGPRsForWavesPerEU: 15
; AccumOffset: 16
; Occupancy: 8
; WaveLimiterHint : 1
; COMPUTE_PGM_RSRC2:SCRATCH_EN: 0
; COMPUTE_PGM_RSRC2:USER_SGPR: 6
; COMPUTE_PGM_RSRC2:TRAP_HANDLER: 0
; COMPUTE_PGM_RSRC2:TGID_X_EN: 1
; COMPUTE_PGM_RSRC2:TGID_Y_EN: 0
; COMPUTE_PGM_RSRC2:TGID_Z_EN: 0
; COMPUTE_PGM_RSRC2:TIDIG_COMP_CNT: 0
; COMPUTE_PGM_RSRC3_GFX90A:ACCUM_OFFSET: 3
; COMPUTE_PGM_RSRC3_GFX90A:TG_SPLIT: 0
	.section	.text._ZN9rocsparseL13ellmvn_kernelILj512Ei21rocsparse_complex_numIfES1_IdES3_S3_EEvT0_S4_S4_NS_24const_host_device_scalarIT4_EEPKS4_PKT1_PKT2_S7_PT3_21rocsparse_index_base_b,"axG",@progbits,_ZN9rocsparseL13ellmvn_kernelILj512Ei21rocsparse_complex_numIfES1_IdES3_S3_EEvT0_S4_S4_NS_24const_host_device_scalarIT4_EEPKS4_PKT1_PKT2_S7_PT3_21rocsparse_index_base_b,comdat
	.globl	_ZN9rocsparseL13ellmvn_kernelILj512Ei21rocsparse_complex_numIfES1_IdES3_S3_EEvT0_S4_S4_NS_24const_host_device_scalarIT4_EEPKS4_PKT1_PKT2_S7_PT3_21rocsparse_index_base_b ; -- Begin function _ZN9rocsparseL13ellmvn_kernelILj512Ei21rocsparse_complex_numIfES1_IdES3_S3_EEvT0_S4_S4_NS_24const_host_device_scalarIT4_EEPKS4_PKT1_PKT2_S7_PT3_21rocsparse_index_base_b
	.p2align	8
	.type	_ZN9rocsparseL13ellmvn_kernelILj512Ei21rocsparse_complex_numIfES1_IdES3_S3_EEvT0_S4_S4_NS_24const_host_device_scalarIT4_EEPKS4_PKT1_PKT2_S7_PT3_21rocsparse_index_base_b,@function
_ZN9rocsparseL13ellmvn_kernelILj512Ei21rocsparse_complex_numIfES1_IdES3_S3_EEvT0_S4_S4_NS_24const_host_device_scalarIT4_EEPKS4_PKT1_PKT2_S7_PT3_21rocsparse_index_base_b: ; @_ZN9rocsparseL13ellmvn_kernelILj512Ei21rocsparse_complex_numIfES1_IdES3_S3_EEvT0_S4_S4_NS_24const_host_device_scalarIT4_EEPKS4_PKT1_PKT2_S7_PT3_21rocsparse_index_base_b
; %bb.0:
	s_load_dwordx2 s[2:3], s[6:7], 0x50
	s_load_dwordx4 s[16:19], s[6:7], 0x10
	s_load_dwordx4 s[12:15], s[6:7], 0x38
	s_mov_b64 s[10:11], src_shared_base
	s_load_dwordx2 s[4:5], s[4:5], 0x4
	s_waitcnt lgkmcnt(0)
	s_bitcmp1_b32 s3, 0
	s_cselect_b64 s[0:1], -1, 0
	s_and_b64 vcc, s[0:1], exec
	s_cselect_b32 s3, s11, s17
	s_lshr_b32 s4, s4, 16
	v_and_b32_e32 v8, 0x3ff, v0
	s_mul_i32 s4, s4, s5
	v_mul_lo_u32 v1, s4, v8
	v_bfe_u32 v2, v0, 10, 10
	v_mad_u32_u24 v1, v2, s5, v1
	v_bfe_u32 v0, v0, 20, 10
	v_add_lshl_u32 v4, v1, v0, 3
	v_mov_b32_e32 v5, s16
	v_add_u32_e32 v6, 0x1000, v4
	v_pk_mov_b32 v[0:1], s[16:17], s[16:17] op_sel:[0,1]
	v_pk_mov_b32 v[2:3], s[12:13], s[12:13] op_sel:[0,1]
	ds_write2st64_b64 v4, v[2:3], v[0:1] offset1:8
	v_cndmask_b32_e64 v0, v5, v6, s[0:1]
	v_mov_b32_e32 v1, s3
	flat_load_dwordx2 v[0:1], v[0:1]
	s_xor_b64 s[4:5], s[0:1], -1
	v_pk_mov_b32 v[2:3], s[18:19], s[18:19] op_sel:[0,1]
	s_cbranch_vccnz .LBB44_2
; %bb.1:
	v_pk_mov_b32 v[2:3], s[16:17], s[16:17] op_sel:[0,1]
	flat_load_dwordx2 v[2:3], v[2:3] offset:8
.LBB44_2:
	s_and_b64 s[16:17], s[0:1], exec
	s_cselect_b32 s3, s11, s13
	v_mov_b32_e32 v5, s12
	v_cndmask_b32_e64 v4, v5, v4, s[0:1]
	v_mov_b32_e32 v5, s3
	flat_load_dwordx2 v[4:5], v[4:5]
	s_andn2_b64 vcc, exec, s[4:5]
	v_pk_mov_b32 v[6:7], s[14:15], s[14:15] op_sel:[0,1]
	s_cbranch_vccnz .LBB44_4
; %bb.3:
	v_pk_mov_b32 v[6:7], s[12:13], s[12:13] op_sel:[0,1]
	flat_load_dwordx2 v[6:7], v[6:7] offset:8
.LBB44_4:
	s_waitcnt vmcnt(0) lgkmcnt(0)
	v_cmp_eq_f64_e32 vcc, 0, v[0:1]
	v_cmp_eq_f64_e64 s[0:1], 0, v[2:3]
	s_and_b64 s[10:11], vcc, s[0:1]
	s_mov_b64 s[0:1], -1
	s_and_saveexec_b64 s[4:5], s[10:11]
; %bb.5:
	v_cmp_neq_f64_e32 vcc, 1.0, v[4:5]
	v_cmp_neq_f64_e64 s[0:1], 0, v[6:7]
	s_or_b64 s[0:1], vcc, s[0:1]
	s_orn2_b64 s[0:1], s[0:1], exec
; %bb.6:
	s_or_b64 exec, exec, s[4:5]
	s_and_saveexec_b64 s[4:5], s[0:1]
	s_cbranch_execz .LBB44_18
; %bb.7:
	s_load_dwordx4 s[12:15], s[6:7], 0x0
	v_lshl_or_b32 v8, s8, 9, v8
	s_waitcnt lgkmcnt(0)
	v_cmp_gt_i32_e32 vcc, s12, v8
	s_and_b64 exec, exec, vcc
	s_cbranch_execz .LBB44_18
; %bb.8:
	s_load_dwordx2 s[4:5], s[6:7], 0x48
	v_pk_mov_b32 v[10:11], 0, 0
	s_cmp_lt_i32 s14, 1
	v_ashrrev_i32_e32 v9, 31, v8
	v_pk_mov_b32 v[12:13], v[10:11], v[10:11] op_sel:[0,1]
	s_cbranch_scc1 .LBB44_14
; %bb.9:
	s_load_dwordx4 s[16:19], s[6:7], 0x20
	s_load_dwordx2 s[8:9], s[6:7], 0x30
	v_lshlrev_b64 v[10:11], 2, v[8:9]
	s_ashr_i32 s1, s12, 31
	s_mov_b32 s0, s12
	s_waitcnt lgkmcnt(0)
	v_mov_b32_e32 v12, s17
	v_add_co_u32_e32 v14, vcc, s16, v10
	v_addc_co_u32_e32 v15, vcc, v12, v11, vcc
	v_lshlrev_b64 v[10:11], 3, v[8:9]
	v_mov_b32_e32 v12, s19
	v_add_co_u32_e32 v10, vcc, s18, v10
	v_addc_co_u32_e32 v11, vcc, v11, v12, vcc
	v_add_co_u32_e32 v16, vcc, 4, v10
	v_addc_co_u32_e32 v17, vcc, 0, v11, vcc
	v_pk_mov_b32 v[10:11], 0, 0
	s_lshl_b64 s[6:7], s[0:1], 2
	s_lshl_b64 s[16:17], s[0:1], 3
	s_mov_b64 s[10:11], 0
	v_mov_b32_e32 v19, 0
	v_pk_mov_b32 v[12:13], v[10:11], v[10:11] op_sel:[0,1]
                                        ; implicit-def: $sgpr18_sgpr19
	s_branch .LBB44_11
.LBB44_10:                              ;   in Loop: Header=BB44_11 Depth=1
	s_or_b64 exec, exec, s[0:1]
	s_and_b64 s[0:1], exec, s[18:19]
	s_or_b64 s[10:11], s[0:1], s[10:11]
	s_andn2_b64 exec, exec, s[10:11]
	s_cbranch_execz .LBB44_13
.LBB44_11:                              ; =>This Inner Loop Header: Depth=1
	global_load_dword v18, v[14:15], off glc slc
	s_or_b64 s[18:19], s[18:19], exec
	s_waitcnt vmcnt(0)
	v_subrev_u32_e32 v18, s2, v18
	v_cmp_lt_i32_e32 vcc, -1, v18
	v_cmp_gt_i32_e64 s[0:1], s13, v18
	s_and_b64 s[20:21], vcc, s[0:1]
	s_and_saveexec_b64 s[0:1], s[20:21]
	s_cbranch_execz .LBB44_10
; %bb.12:                               ;   in Loop: Header=BB44_11 Depth=1
	v_lshlrev_b64 v[20:21], 4, v[18:19]
	v_mov_b32_e32 v18, s9
	v_add_co_u32_e32 v20, vcc, s8, v20
	global_load_dwordx2 v[24:25], v[16:17], off offset:-4 glc slc
	v_addc_co_u32_e32 v21, vcc, v18, v21, vcc
	global_load_dwordx4 v[20:23], v[20:21], off
	v_mov_b32_e32 v18, s7
	v_add_co_u32_e32 v14, vcc, s6, v14
	s_add_i32 s14, s14, -1
	v_addc_co_u32_e32 v15, vcc, v15, v18, vcc
	v_mov_b32_e32 v26, s17
	v_add_co_u32_e32 v16, vcc, s16, v16
	s_cmp_eq_u32 s14, 0
	v_addc_co_u32_e32 v17, vcc, v17, v26, vcc
	s_cselect_b64 s[20:21], -1, 0
	s_andn2_b64 s[18:19], s[18:19], exec
	s_and_b64 s[20:21], s[20:21], exec
	s_or_b64 s[18:19], s[18:19], s[20:21]
	s_waitcnt vmcnt(1)
	v_cvt_f64_f32_e32 v[26:27], v24
	v_cvt_f64_f32_e32 v[24:25], v25
	s_waitcnt vmcnt(0)
	v_fmac_f64_e32 v[12:13], v[26:27], v[20:21]
	v_fmac_f64_e32 v[10:11], v[24:25], v[20:21]
	v_fma_f64 v[12:13], -v[24:25], v[22:23], v[12:13]
	v_fmac_f64_e32 v[10:11], v[26:27], v[22:23]
	s_branch .LBB44_10
.LBB44_13:
	s_or_b64 exec, exec, s[10:11]
.LBB44_14:
	v_cmp_eq_f64_e32 vcc, 0, v[4:5]
	v_cmp_eq_f64_e64 s[0:1], 0, v[6:7]
	s_and_b64 s[0:1], vcc, s[0:1]
	s_and_saveexec_b64 s[2:3], s[0:1]
	s_xor_b64 s[0:1], exec, s[2:3]
	s_cbranch_execz .LBB44_16
; %bb.15:
	v_mul_f64 v[4:5], v[10:11], -v[2:3]
	v_fmac_f64_e32 v[4:5], v[0:1], v[12:13]
	v_mul_f64 v[6:7], v[0:1], v[10:11]
	v_lshlrev_b64 v[0:1], 4, v[8:9]
	v_fmac_f64_e32 v[6:7], v[2:3], v[12:13]
	s_waitcnt lgkmcnt(0)
	v_mov_b32_e32 v2, s5
	v_add_co_u32_e32 v0, vcc, s4, v0
	v_addc_co_u32_e32 v1, vcc, v2, v1, vcc
	global_store_dwordx4 v[0:1], v[4:7], off glc slc
                                        ; implicit-def: $vgpr8
                                        ; implicit-def: $vgpr10_vgpr11
                                        ; implicit-def: $vgpr2_vgpr3
                                        ; implicit-def: $vgpr0_vgpr1
                                        ; implicit-def: $vgpr12_vgpr13
                                        ; implicit-def: $vgpr4_vgpr5
                                        ; implicit-def: $vgpr6_vgpr7
.LBB44_16:
	s_andn2_saveexec_b64 s[0:1], s[0:1]
	s_cbranch_execz .LBB44_18
; %bb.17:
	v_lshlrev_b64 v[8:9], 4, v[8:9]
	s_waitcnt lgkmcnt(0)
	v_mov_b32_e32 v14, s5
	v_add_co_u32_e32 v18, vcc, s4, v8
	v_addc_co_u32_e32 v19, vcc, v14, v9, vcc
	global_load_dwordx4 v[14:17], v[18:19], off glc slc
	v_mul_f64 v[20:21], v[10:11], -v[2:3]
	v_mul_f64 v[8:9], v[0:1], v[10:11]
	v_fmac_f64_e32 v[20:21], v[0:1], v[12:13]
	v_fmac_f64_e32 v[8:9], v[2:3], v[12:13]
	s_waitcnt vmcnt(0)
	v_fmac_f64_e32 v[20:21], v[4:5], v[14:15]
	v_fmac_f64_e32 v[8:9], v[6:7], v[14:15]
	v_fma_f64 v[6:7], -v[6:7], v[16:17], v[20:21]
	v_fmac_f64_e32 v[8:9], v[4:5], v[16:17]
	global_store_dwordx4 v[18:19], v[6:9], off glc slc
.LBB44_18:
	s_endpgm
	.section	.rodata,"a",@progbits
	.p2align	6, 0x0
	.amdhsa_kernel _ZN9rocsparseL13ellmvn_kernelILj512Ei21rocsparse_complex_numIfES1_IdES3_S3_EEvT0_S4_S4_NS_24const_host_device_scalarIT4_EEPKS4_PKT1_PKT2_S7_PT3_21rocsparse_index_base_b
		.amdhsa_group_segment_fixed_size 8192
		.amdhsa_private_segment_fixed_size 0
		.amdhsa_kernarg_size 88
		.amdhsa_user_sgpr_count 8
		.amdhsa_user_sgpr_private_segment_buffer 1
		.amdhsa_user_sgpr_dispatch_ptr 1
		.amdhsa_user_sgpr_queue_ptr 0
		.amdhsa_user_sgpr_kernarg_segment_ptr 1
		.amdhsa_user_sgpr_dispatch_id 0
		.amdhsa_user_sgpr_flat_scratch_init 0
		.amdhsa_user_sgpr_kernarg_preload_length 0
		.amdhsa_user_sgpr_kernarg_preload_offset 0
		.amdhsa_user_sgpr_private_segment_size 0
		.amdhsa_uses_dynamic_stack 0
		.amdhsa_system_sgpr_private_segment_wavefront_offset 0
		.amdhsa_system_sgpr_workgroup_id_x 1
		.amdhsa_system_sgpr_workgroup_id_y 0
		.amdhsa_system_sgpr_workgroup_id_z 0
		.amdhsa_system_sgpr_workgroup_info 0
		.amdhsa_system_vgpr_workitem_id 2
		.amdhsa_next_free_vgpr 28
		.amdhsa_next_free_sgpr 22
		.amdhsa_accum_offset 28
		.amdhsa_reserve_vcc 1
		.amdhsa_reserve_flat_scratch 0
		.amdhsa_float_round_mode_32 0
		.amdhsa_float_round_mode_16_64 0
		.amdhsa_float_denorm_mode_32 3
		.amdhsa_float_denorm_mode_16_64 3
		.amdhsa_dx10_clamp 1
		.amdhsa_ieee_mode 1
		.amdhsa_fp16_overflow 0
		.amdhsa_tg_split 0
		.amdhsa_exception_fp_ieee_invalid_op 0
		.amdhsa_exception_fp_denorm_src 0
		.amdhsa_exception_fp_ieee_div_zero 0
		.amdhsa_exception_fp_ieee_overflow 0
		.amdhsa_exception_fp_ieee_underflow 0
		.amdhsa_exception_fp_ieee_inexact 0
		.amdhsa_exception_int_div_zero 0
	.end_amdhsa_kernel
	.section	.text._ZN9rocsparseL13ellmvn_kernelILj512Ei21rocsparse_complex_numIfES1_IdES3_S3_EEvT0_S4_S4_NS_24const_host_device_scalarIT4_EEPKS4_PKT1_PKT2_S7_PT3_21rocsparse_index_base_b,"axG",@progbits,_ZN9rocsparseL13ellmvn_kernelILj512Ei21rocsparse_complex_numIfES1_IdES3_S3_EEvT0_S4_S4_NS_24const_host_device_scalarIT4_EEPKS4_PKT1_PKT2_S7_PT3_21rocsparse_index_base_b,comdat
.Lfunc_end44:
	.size	_ZN9rocsparseL13ellmvn_kernelILj512Ei21rocsparse_complex_numIfES1_IdES3_S3_EEvT0_S4_S4_NS_24const_host_device_scalarIT4_EEPKS4_PKT1_PKT2_S7_PT3_21rocsparse_index_base_b, .Lfunc_end44-_ZN9rocsparseL13ellmvn_kernelILj512Ei21rocsparse_complex_numIfES1_IdES3_S3_EEvT0_S4_S4_NS_24const_host_device_scalarIT4_EEPKS4_PKT1_PKT2_S7_PT3_21rocsparse_index_base_b
                                        ; -- End function
	.section	.AMDGPU.csdata,"",@progbits
; Kernel info:
; codeLenInByte = 880
; NumSgprs: 26
; NumVgprs: 28
; NumAgprs: 0
; TotalNumVgprs: 28
; ScratchSize: 0
; MemoryBound: 0
; FloatMode: 240
; IeeeMode: 1
; LDSByteSize: 8192 bytes/workgroup (compile time only)
; SGPRBlocks: 3
; VGPRBlocks: 3
; NumSGPRsForWavesPerEU: 26
; NumVGPRsForWavesPerEU: 28
; AccumOffset: 28
; Occupancy: 8
; WaveLimiterHint : 1
; COMPUTE_PGM_RSRC2:SCRATCH_EN: 0
; COMPUTE_PGM_RSRC2:USER_SGPR: 8
; COMPUTE_PGM_RSRC2:TRAP_HANDLER: 0
; COMPUTE_PGM_RSRC2:TGID_X_EN: 1
; COMPUTE_PGM_RSRC2:TGID_Y_EN: 0
; COMPUTE_PGM_RSRC2:TGID_Z_EN: 0
; COMPUTE_PGM_RSRC2:TIDIG_COMP_CNT: 2
; COMPUTE_PGM_RSRC3_GFX90A:ACCUM_OFFSET: 6
; COMPUTE_PGM_RSRC3_GFX90A:TG_SPLIT: 0
	.section	.text._ZN9rocsparseL13ellmvt_kernelILj1024Ei21rocsparse_complex_numIfES1_IdES3_S3_EEv20rocsparse_operation_T0_S5_S5_NS_24const_host_device_scalarIT4_EEPKS5_PKT1_PKT2_PT3_21rocsparse_index_base_b,"axG",@progbits,_ZN9rocsparseL13ellmvt_kernelILj1024Ei21rocsparse_complex_numIfES1_IdES3_S3_EEv20rocsparse_operation_T0_S5_S5_NS_24const_host_device_scalarIT4_EEPKS5_PKT1_PKT2_PT3_21rocsparse_index_base_b,comdat
	.globl	_ZN9rocsparseL13ellmvt_kernelILj1024Ei21rocsparse_complex_numIfES1_IdES3_S3_EEv20rocsparse_operation_T0_S5_S5_NS_24const_host_device_scalarIT4_EEPKS5_PKT1_PKT2_PT3_21rocsparse_index_base_b ; -- Begin function _ZN9rocsparseL13ellmvt_kernelILj1024Ei21rocsparse_complex_numIfES1_IdES3_S3_EEv20rocsparse_operation_T0_S5_S5_NS_24const_host_device_scalarIT4_EEPKS5_PKT1_PKT2_PT3_21rocsparse_index_base_b
	.p2align	8
	.type	_ZN9rocsparseL13ellmvt_kernelILj1024Ei21rocsparse_complex_numIfES1_IdES3_S3_EEv20rocsparse_operation_T0_S5_S5_NS_24const_host_device_scalarIT4_EEPKS5_PKT1_PKT2_PT3_21rocsparse_index_base_b,@function
_ZN9rocsparseL13ellmvt_kernelILj1024Ei21rocsparse_complex_numIfES1_IdES3_S3_EEv20rocsparse_operation_T0_S5_S5_NS_24const_host_device_scalarIT4_EEPKS5_PKT1_PKT2_PT3_21rocsparse_index_base_b: ; @_ZN9rocsparseL13ellmvt_kernelILj1024Ei21rocsparse_complex_numIfES1_IdES3_S3_EEv20rocsparse_operation_T0_S5_S5_NS_24const_host_device_scalarIT4_EEPKS5_PKT1_PKT2_PT3_21rocsparse_index_base_b
; %bb.0:
	s_load_dwordx2 s[12:13], s[6:7], 0x40
	s_load_dwordx2 s[10:11], s[4:5], 0x4
	s_load_dwordx4 s[0:3], s[6:7], 0x10
	v_and_b32_e32 v4, 0x3ff, v0
	v_bfe_u32 v2, v0, 10, 10
	s_waitcnt lgkmcnt(0)
	s_and_b32 s4, 1, s13
	s_lshr_b32 s5, s10, 16
	s_mul_i32 s5, s5, s11
	v_mul_lo_u32 v1, s5, v4
	s_cmp_eq_u32 s4, 1
	v_mad_u32_u24 v1, v2, s11, v1
	v_bfe_u32 v0, v0, 20, 10
	v_add_lshl_u32 v2, v1, v0, 3
	v_pk_mov_b32 v[0:1], s[0:1], s[0:1] op_sel:[0,1]
	s_cselect_b64 vcc, -1, 0
	ds_write_b64 v2, v[0:1]
	s_mov_b64 s[4:5], src_shared_base
	v_cndmask_b32_e32 v0, v0, v2, vcc
	s_and_b64 vcc, vcc, exec
	s_cselect_b32 s4, s5, s1
	v_mov_b32_e32 v1, s4
	flat_load_dwordx2 v[0:1], v[0:1]
	v_pk_mov_b32 v[2:3], s[2:3], s[2:3] op_sel:[0,1]
	s_cbranch_vccnz .LBB45_2
; %bb.1:
	v_pk_mov_b32 v[2:3], s[0:1], s[0:1] op_sel:[0,1]
	flat_load_dwordx2 v[2:3], v[2:3] offset:8
.LBB45_2:
	s_waitcnt vmcnt(0) lgkmcnt(0)
	v_cmp_neq_f64_e32 vcc, 0, v[0:1]
	v_cmp_neq_f64_e64 s[0:1], 0, v[2:3]
	s_or_b64 s[0:1], vcc, s[0:1]
	s_and_saveexec_b64 s[2:3], s[0:1]
	s_cbranch_execz .LBB45_13
; %bb.3:
	s_load_dwordx4 s[0:3], s[6:7], 0x0
	v_lshl_or_b32 v4, s8, 10, v4
	s_waitcnt lgkmcnt(0)
	v_cmp_gt_i32_e32 vcc, s1, v4
	s_and_b64 exec, exec, vcc
	s_cbranch_execz .LBB45_13
; %bb.4:
	s_cmp_lt_i32 s3, 1
	s_cbranch_scc1 .LBB45_13
; %bb.5:
	s_load_dwordx8 s[4:11], s[6:7], 0x20
	v_ashrrev_i32_e32 v5, 31, v4
	v_lshlrev_b64 v[6:7], 4, v[4:5]
	s_ashr_i32 s13, s1, 31
	s_cmpk_eq_i32 s0, 0x71
	s_waitcnt lgkmcnt(0)
	v_mov_b32_e32 v8, s9
	v_add_co_u32_e32 v6, vcc, s8, v6
	v_addc_co_u32_e32 v7, vcc, v8, v7, vcc
	global_load_dwordx4 v[10:13], v[6:7], off
	s_mov_b32 s20, 0
	s_mov_b64 s[8:9], 0
	v_mov_b32_e32 v20, s1
	s_cselect_b64 s[14:15], -1, 0
	v_mov_b32_e32 v21, s5
                                        ; implicit-def: $sgpr16_sgpr17
	s_waitcnt vmcnt(0)
	v_mul_f64 v[6:7], v[12:13], -v[2:3]
	v_mul_f64 v[8:9], v[0:1], v[12:13]
	v_fmac_f64_e32 v[6:7], v[0:1], v[10:11]
	v_fmac_f64_e32 v[8:9], v[2:3], v[10:11]
	v_mov_b32_e32 v11, 0
	s_branch .LBB45_7
.LBB45_6:                               ;   in Loop: Header=BB45_7 Depth=1
	s_or_b64 exec, exec, s[0:1]
	s_and_b64 s[0:1], exec, s[16:17]
	s_or_b64 s[8:9], s[0:1], s[8:9]
	s_andn2_b64 exec, exec, s[8:9]
	s_cbranch_execz .LBB45_13
.LBB45_7:                               ; =>This Loop Header: Depth=1
                                        ;     Child Loop BB45_9 Depth 2
                                        ;     Child Loop BB45_11 Depth 2
	v_mad_u64_u32 v[0:1], s[0:1], s20, v20, v[4:5]
	s_mul_i32 s0, s20, s13
	v_add_u32_e32 v1, s0, v1
	v_lshlrev_b64 v[2:3], 2, v[0:1]
	v_add_co_u32_e32 v2, vcc, s4, v2
	v_addc_co_u32_e32 v3, vcc, v21, v3, vcc
	global_load_dword v2, v[2:3], off glc slc
	s_or_b64 s[16:17], s[16:17], exec
	s_waitcnt vmcnt(0)
	v_subrev_u32_e32 v10, s12, v2
	v_cmp_lt_i32_e32 vcc, -1, v10
	v_cmp_gt_i32_e64 s[0:1], s2, v10
	s_and_b64 s[18:19], vcc, s[0:1]
	s_and_saveexec_b64 s[0:1], s[18:19]
	s_cbranch_execz .LBB45_6
; %bb.8:                                ;   in Loop: Header=BB45_7 Depth=1
	v_lshlrev_b64 v[0:1], 3, v[0:1]
	v_mov_b32_e32 v2, s7
	v_add_co_u32_e32 v0, vcc, s6, v0
	v_addc_co_u32_e32 v1, vcc, v2, v1, vcc
	global_load_dwordx2 v[0:1], v[0:1], off glc slc
	v_lshlrev_b64 v[2:3], 4, v[10:11]
	v_mov_b32_e32 v10, s11
	v_add_co_u32_e32 v12, vcc, s10, v2
	v_addc_co_u32_e32 v13, vcc, v10, v3, vcc
	global_load_dwordx2 v[2:3], v[12:13], off
	s_mov_b64 s[18:19], 0
	s_waitcnt vmcnt(1)
	v_cndmask_b32_e64 v1, v1, -v1, s[14:15]
	v_cvt_f64_f32_e32 v[16:17], v1
	v_cvt_f64_f32_e32 v[14:15], v0
	v_mul_f64 v[18:19], -v[8:9], v[16:17]
	v_fmac_f64_e32 v[18:19], v[6:7], v[14:15]
.LBB45_9:                               ;   Parent Loop BB45_7 Depth=1
                                        ; =>  This Inner Loop Header: Depth=2
	s_waitcnt vmcnt(0)
	v_add_f64 v[0:1], v[2:3], v[18:19]
	global_atomic_cmpswap_x2 v[0:1], v[12:13], v[0:3], off glc
	s_waitcnt vmcnt(0)
	v_cmp_eq_u64_e32 vcc, v[0:1], v[2:3]
	s_or_b64 s[18:19], vcc, s[18:19]
	v_pk_mov_b32 v[2:3], v[0:1], v[0:1] op_sel:[0,1]
	s_andn2_b64 exec, exec, s[18:19]
	s_cbranch_execnz .LBB45_9
; %bb.10:                               ;   in Loop: Header=BB45_7 Depth=1
	s_or_b64 exec, exec, s[18:19]
	global_load_dwordx2 v[2:3], v[12:13], off offset:8
	v_mul_f64 v[16:17], v[6:7], v[16:17]
	v_fmac_f64_e32 v[16:17], v[8:9], v[14:15]
	s_mov_b64 s[18:19], 0
.LBB45_11:                              ;   Parent Loop BB45_7 Depth=1
                                        ; =>  This Inner Loop Header: Depth=2
	s_waitcnt vmcnt(0)
	v_add_f64 v[0:1], v[2:3], v[16:17]
	global_atomic_cmpswap_x2 v[0:1], v[12:13], v[0:3], off offset:8 glc
	s_waitcnt vmcnt(0)
	v_cmp_eq_u64_e32 vcc, v[0:1], v[2:3]
	s_or_b64 s[18:19], vcc, s[18:19]
	v_pk_mov_b32 v[2:3], v[0:1], v[0:1] op_sel:[0,1]
	s_andn2_b64 exec, exec, s[18:19]
	s_cbranch_execnz .LBB45_11
; %bb.12:                               ;   in Loop: Header=BB45_7 Depth=1
	s_or_b64 exec, exec, s[18:19]
	s_add_i32 s20, s20, 1
	s_cmp_eq_u32 s20, s3
	s_cselect_b64 s[18:19], -1, 0
	s_andn2_b64 s[16:17], s[16:17], exec
	s_and_b64 s[18:19], s[18:19], exec
	s_or_b64 s[16:17], s[16:17], s[18:19]
	s_branch .LBB45_6
.LBB45_13:
	s_endpgm
	.section	.rodata,"a",@progbits
	.p2align	6, 0x0
	.amdhsa_kernel _ZN9rocsparseL13ellmvt_kernelILj1024Ei21rocsparse_complex_numIfES1_IdES3_S3_EEv20rocsparse_operation_T0_S5_S5_NS_24const_host_device_scalarIT4_EEPKS5_PKT1_PKT2_PT3_21rocsparse_index_base_b
		.amdhsa_group_segment_fixed_size 8192
		.amdhsa_private_segment_fixed_size 0
		.amdhsa_kernarg_size 72
		.amdhsa_user_sgpr_count 8
		.amdhsa_user_sgpr_private_segment_buffer 1
		.amdhsa_user_sgpr_dispatch_ptr 1
		.amdhsa_user_sgpr_queue_ptr 0
		.amdhsa_user_sgpr_kernarg_segment_ptr 1
		.amdhsa_user_sgpr_dispatch_id 0
		.amdhsa_user_sgpr_flat_scratch_init 0
		.amdhsa_user_sgpr_kernarg_preload_length 0
		.amdhsa_user_sgpr_kernarg_preload_offset 0
		.amdhsa_user_sgpr_private_segment_size 0
		.amdhsa_uses_dynamic_stack 0
		.amdhsa_system_sgpr_private_segment_wavefront_offset 0
		.amdhsa_system_sgpr_workgroup_id_x 1
		.amdhsa_system_sgpr_workgroup_id_y 0
		.amdhsa_system_sgpr_workgroup_id_z 0
		.amdhsa_system_sgpr_workgroup_info 0
		.amdhsa_system_vgpr_workitem_id 2
		.amdhsa_next_free_vgpr 22
		.amdhsa_next_free_sgpr 21
		.amdhsa_accum_offset 24
		.amdhsa_reserve_vcc 1
		.amdhsa_reserve_flat_scratch 0
		.amdhsa_float_round_mode_32 0
		.amdhsa_float_round_mode_16_64 0
		.amdhsa_float_denorm_mode_32 3
		.amdhsa_float_denorm_mode_16_64 3
		.amdhsa_dx10_clamp 1
		.amdhsa_ieee_mode 1
		.amdhsa_fp16_overflow 0
		.amdhsa_tg_split 0
		.amdhsa_exception_fp_ieee_invalid_op 0
		.amdhsa_exception_fp_denorm_src 0
		.amdhsa_exception_fp_ieee_div_zero 0
		.amdhsa_exception_fp_ieee_overflow 0
		.amdhsa_exception_fp_ieee_underflow 0
		.amdhsa_exception_fp_ieee_inexact 0
		.amdhsa_exception_int_div_zero 0
	.end_amdhsa_kernel
	.section	.text._ZN9rocsparseL13ellmvt_kernelILj1024Ei21rocsparse_complex_numIfES1_IdES3_S3_EEv20rocsparse_operation_T0_S5_S5_NS_24const_host_device_scalarIT4_EEPKS5_PKT1_PKT2_PT3_21rocsparse_index_base_b,"axG",@progbits,_ZN9rocsparseL13ellmvt_kernelILj1024Ei21rocsparse_complex_numIfES1_IdES3_S3_EEv20rocsparse_operation_T0_S5_S5_NS_24const_host_device_scalarIT4_EEPKS5_PKT1_PKT2_PT3_21rocsparse_index_base_b,comdat
.Lfunc_end45:
	.size	_ZN9rocsparseL13ellmvt_kernelILj1024Ei21rocsparse_complex_numIfES1_IdES3_S3_EEv20rocsparse_operation_T0_S5_S5_NS_24const_host_device_scalarIT4_EEPKS5_PKT1_PKT2_PT3_21rocsparse_index_base_b, .Lfunc_end45-_ZN9rocsparseL13ellmvt_kernelILj1024Ei21rocsparse_complex_numIfES1_IdES3_S3_EEv20rocsparse_operation_T0_S5_S5_NS_24const_host_device_scalarIT4_EEPKS5_PKT1_PKT2_PT3_21rocsparse_index_base_b
                                        ; -- End function
	.section	.AMDGPU.csdata,"",@progbits
; Kernel info:
; codeLenInByte = 692
; NumSgprs: 25
; NumVgprs: 22
; NumAgprs: 0
; TotalNumVgprs: 22
; ScratchSize: 0
; MemoryBound: 0
; FloatMode: 240
; IeeeMode: 1
; LDSByteSize: 8192 bytes/workgroup (compile time only)
; SGPRBlocks: 3
; VGPRBlocks: 2
; NumSGPRsForWavesPerEU: 25
; NumVGPRsForWavesPerEU: 22
; AccumOffset: 24
; Occupancy: 8
; WaveLimiterHint : 1
; COMPUTE_PGM_RSRC2:SCRATCH_EN: 0
; COMPUTE_PGM_RSRC2:USER_SGPR: 8
; COMPUTE_PGM_RSRC2:TRAP_HANDLER: 0
; COMPUTE_PGM_RSRC2:TGID_X_EN: 1
; COMPUTE_PGM_RSRC2:TGID_Y_EN: 0
; COMPUTE_PGM_RSRC2:TGID_Z_EN: 0
; COMPUTE_PGM_RSRC2:TIDIG_COMP_CNT: 2
; COMPUTE_PGM_RSRC3_GFX90A:ACCUM_OFFSET: 5
; COMPUTE_PGM_RSRC3_GFX90A:TG_SPLIT: 0
	.section	.text._ZN9rocsparseL13ellmvn_kernelILj512El21rocsparse_complex_numIfES1_IdES3_S3_EEvT0_S4_S4_NS_24const_host_device_scalarIT4_EEPKS4_PKT1_PKT2_S7_PT3_21rocsparse_index_base_b,"axG",@progbits,_ZN9rocsparseL13ellmvn_kernelILj512El21rocsparse_complex_numIfES1_IdES3_S3_EEvT0_S4_S4_NS_24const_host_device_scalarIT4_EEPKS4_PKT1_PKT2_S7_PT3_21rocsparse_index_base_b,comdat
	.globl	_ZN9rocsparseL13ellmvn_kernelILj512El21rocsparse_complex_numIfES1_IdES3_S3_EEvT0_S4_S4_NS_24const_host_device_scalarIT4_EEPKS4_PKT1_PKT2_S7_PT3_21rocsparse_index_base_b ; -- Begin function _ZN9rocsparseL13ellmvn_kernelILj512El21rocsparse_complex_numIfES1_IdES3_S3_EEvT0_S4_S4_NS_24const_host_device_scalarIT4_EEPKS4_PKT1_PKT2_S7_PT3_21rocsparse_index_base_b
	.p2align	8
	.type	_ZN9rocsparseL13ellmvn_kernelILj512El21rocsparse_complex_numIfES1_IdES3_S3_EEvT0_S4_S4_NS_24const_host_device_scalarIT4_EEPKS4_PKT1_PKT2_S7_PT3_21rocsparse_index_base_b,@function
_ZN9rocsparseL13ellmvn_kernelILj512El21rocsparse_complex_numIfES1_IdES3_S3_EEvT0_S4_S4_NS_24const_host_device_scalarIT4_EEPKS4_PKT1_PKT2_S7_PT3_21rocsparse_index_base_b: ; @_ZN9rocsparseL13ellmvn_kernelILj512El21rocsparse_complex_numIfES1_IdES3_S3_EEvT0_S4_S4_NS_24const_host_device_scalarIT4_EEPKS4_PKT1_PKT2_S7_PT3_21rocsparse_index_base_b
; %bb.0:
	s_load_dwordx2 s[2:3], s[6:7], 0x58
	s_load_dwordx8 s[12:19], s[6:7], 0x0
	s_load_dwordx2 s[10:11], s[4:5], 0x4
	s_mov_b64 s[4:5], src_shared_base
	s_load_dwordx4 s[20:23], s[6:7], 0x40
	s_load_dwordx2 s[24:25], s[6:7], 0x20
	s_waitcnt lgkmcnt(0)
	s_bitcmp1_b32 s3, 0
	s_cselect_b64 s[0:1], -1, 0
	s_and_b64 vcc, s[0:1], exec
	s_cselect_b32 s3, s5, s19
	s_lshr_b32 s4, s10, 16
	v_and_b32_e32 v8, 0x3ff, v0
	s_mul_i32 s4, s4, s11
	v_mul_lo_u32 v1, s4, v8
	v_bfe_u32 v2, v0, 10, 10
	v_mad_u32_u24 v1, v2, s11, v1
	v_bfe_u32 v0, v0, 20, 10
	v_add_lshl_u32 v4, v1, v0, 3
	v_mov_b32_e32 v5, s18
	v_add_u32_e32 v6, 0x1000, v4
	v_pk_mov_b32 v[0:1], s[18:19], s[18:19] op_sel:[0,1]
	v_pk_mov_b32 v[2:3], s[20:21], s[20:21] op_sel:[0,1]
	ds_write2st64_b64 v4, v[2:3], v[0:1] offset1:8
	v_cndmask_b32_e64 v0, v5, v6, s[0:1]
	v_mov_b32_e32 v1, s3
	flat_load_dwordx2 v[0:1], v[0:1]
	s_xor_b64 s[10:11], s[0:1], -1
	v_pk_mov_b32 v[2:3], s[24:25], s[24:25] op_sel:[0,1]
	s_cbranch_vccnz .LBB46_2
; %bb.1:
	v_pk_mov_b32 v[2:3], s[18:19], s[18:19] op_sel:[0,1]
	flat_load_dwordx2 v[2:3], v[2:3] offset:8
.LBB46_2:
	s_and_b64 s[18:19], s[0:1], exec
	s_cselect_b32 s3, s5, s21
	v_mov_b32_e32 v5, s20
	v_cndmask_b32_e64 v4, v5, v4, s[0:1]
	v_mov_b32_e32 v5, s3
	flat_load_dwordx2 v[4:5], v[4:5]
	s_andn2_b64 vcc, exec, s[10:11]
	v_pk_mov_b32 v[6:7], s[22:23], s[22:23] op_sel:[0,1]
	s_cbranch_vccnz .LBB46_4
; %bb.3:
	v_pk_mov_b32 v[6:7], s[20:21], s[20:21] op_sel:[0,1]
	flat_load_dwordx2 v[6:7], v[6:7] offset:8
.LBB46_4:
	s_waitcnt vmcnt(0) lgkmcnt(0)
	v_cmp_eq_f64_e32 vcc, 0, v[0:1]
	v_cmp_eq_f64_e64 s[0:1], 0, v[2:3]
	s_and_b64 s[10:11], vcc, s[0:1]
	s_mov_b64 s[0:1], -1
	s_and_saveexec_b64 s[4:5], s[10:11]
; %bb.5:
	v_cmp_neq_f64_e32 vcc, 1.0, v[4:5]
	v_cmp_neq_f64_e64 s[0:1], 0, v[6:7]
	s_or_b64 s[0:1], vcc, s[0:1]
	s_orn2_b64 s[0:1], s[0:1], exec
; %bb.6:
	s_or_b64 exec, exec, s[4:5]
	s_and_saveexec_b64 s[4:5], s[0:1]
	s_cbranch_execz .LBB46_18
; %bb.7:
	v_lshl_or_b32 v8, s8, 9, v8
	v_mov_b32_e32 v9, 0
	v_cmp_gt_i64_e32 vcc, s[12:13], v[8:9]
	s_and_b64 exec, exec, vcc
	s_cbranch_execz .LBB46_18
; %bb.8:
	s_load_dwordx2 s[4:5], s[6:7], 0x50
	v_cmp_lt_i64_e64 s[0:1], s[16:17], 1
	v_pk_mov_b32 v[10:11], 0, 0
	s_mov_b64 s[18:19], 0
	s_and_b64 vcc, exec, s[0:1]
	v_pk_mov_b32 v[12:13], v[10:11], v[10:11] op_sel:[0,1]
	s_cbranch_vccnz .LBB46_14
; %bb.9:
	s_load_dwordx4 s[8:11], s[6:7], 0x28
	s_load_dwordx2 s[20:21], s[6:7], 0x38
	s_mov_b32 s0, 0
	v_pk_mov_b32 v[10:11], 0, 0
	v_lshlrev_b64 v[14:15], 3, v[8:9]
	s_lshl_b64 s[6:7], s[12:13], 3
	s_waitcnt lgkmcnt(0)
	v_mov_b32_e32 v18, s9
	v_mov_b32_e32 v19, s0
	v_pk_mov_b32 v[12:13], v[10:11], v[10:11] op_sel:[0,1]
                                        ; implicit-def: $sgpr12_sgpr13
	s_branch .LBB46_11
.LBB46_10:                              ;   in Loop: Header=BB46_11 Depth=1
	s_or_b64 exec, exec, s[0:1]
	s_and_b64 s[0:1], exec, s[12:13]
	s_or_b64 s[18:19], s[0:1], s[18:19]
	s_andn2_b64 exec, exec, s[18:19]
	s_cbranch_execz .LBB46_13
.LBB46_11:                              ; =>This Inner Loop Header: Depth=1
	v_add_co_u32_e32 v16, vcc, s8, v14
	v_addc_co_u32_e32 v17, vcc, v18, v15, vcc
	global_load_dwordx2 v[16:17], v[16:17], off glc slc
	s_or_b64 s[12:13], s[12:13], exec
	s_waitcnt vmcnt(0)
	v_subrev_co_u32_e32 v16, vcc, s2, v16
	v_subb_co_u32_e32 v17, vcc, v17, v19, vcc
	v_cmp_lt_i64_e32 vcc, -1, v[16:17]
	v_cmp_gt_i64_e64 s[0:1], s[14:15], v[16:17]
	s_and_b64 s[22:23], vcc, s[0:1]
	s_and_saveexec_b64 s[0:1], s[22:23]
	s_cbranch_execz .LBB46_10
; %bb.12:                               ;   in Loop: Header=BB46_11 Depth=1
	v_mov_b32_e32 v21, s11
	v_add_co_u32_e32 v20, vcc, s10, v14
	v_addc_co_u32_e32 v21, vcc, v21, v15, vcc
	v_lshlrev_b64 v[16:17], 4, v[16:17]
	global_load_dwordx2 v[24:25], v[20:21], off glc slc
	v_mov_b32_e32 v20, s21
	v_add_co_u32_e32 v16, vcc, s20, v16
	v_addc_co_u32_e32 v17, vcc, v20, v17, vcc
	global_load_dwordx4 v[20:23], v[16:17], off
	s_add_u32 s16, s16, -1
	s_addc_u32 s17, s17, -1
	v_mov_b32_e32 v16, s7
	v_add_co_u32_e32 v14, vcc, s6, v14
	s_cmp_eq_u64 s[16:17], 0
	v_addc_co_u32_e32 v15, vcc, v15, v16, vcc
	s_cselect_b64 s[22:23], -1, 0
	s_andn2_b64 s[12:13], s[12:13], exec
	s_and_b64 s[22:23], s[22:23], exec
	s_or_b64 s[12:13], s[12:13], s[22:23]
	s_waitcnt vmcnt(1)
	v_cvt_f64_f32_e32 v[16:17], v24
	v_cvt_f64_f32_e32 v[24:25], v25
	s_waitcnt vmcnt(0)
	v_fmac_f64_e32 v[12:13], v[16:17], v[20:21]
	v_fmac_f64_e32 v[10:11], v[24:25], v[20:21]
	v_fma_f64 v[12:13], -v[24:25], v[22:23], v[12:13]
	v_fmac_f64_e32 v[10:11], v[16:17], v[22:23]
	s_branch .LBB46_10
.LBB46_13:
	s_or_b64 exec, exec, s[18:19]
.LBB46_14:
	v_cmp_eq_f64_e32 vcc, 0, v[4:5]
	v_cmp_eq_f64_e64 s[0:1], 0, v[6:7]
	s_and_b64 s[0:1], vcc, s[0:1]
	s_and_saveexec_b64 s[2:3], s[0:1]
	s_xor_b64 s[0:1], exec, s[2:3]
	s_cbranch_execz .LBB46_16
; %bb.15:
	v_mul_f64 v[4:5], v[10:11], -v[2:3]
	v_fmac_f64_e32 v[4:5], v[0:1], v[12:13]
	v_mul_f64 v[6:7], v[0:1], v[10:11]
	v_lshlrev_b64 v[0:1], 4, v[8:9]
	v_fmac_f64_e32 v[6:7], v[2:3], v[12:13]
	s_waitcnt lgkmcnt(0)
	v_mov_b32_e32 v2, s5
	v_add_co_u32_e32 v0, vcc, s4, v0
	v_addc_co_u32_e32 v1, vcc, v2, v1, vcc
	global_store_dwordx4 v[0:1], v[4:7], off glc slc
                                        ; implicit-def: $vgpr8_vgpr9
                                        ; implicit-def: $vgpr10_vgpr11
                                        ; implicit-def: $vgpr2_vgpr3
                                        ; implicit-def: $vgpr0_vgpr1
                                        ; implicit-def: $vgpr12_vgpr13
                                        ; implicit-def: $vgpr4_vgpr5
                                        ; implicit-def: $vgpr6_vgpr7
.LBB46_16:
	s_andn2_saveexec_b64 s[0:1], s[0:1]
	s_cbranch_execz .LBB46_18
; %bb.17:
	v_lshlrev_b64 v[8:9], 4, v[8:9]
	s_waitcnt lgkmcnt(0)
	v_mov_b32_e32 v14, s5
	v_add_co_u32_e32 v18, vcc, s4, v8
	v_addc_co_u32_e32 v19, vcc, v14, v9, vcc
	global_load_dwordx4 v[14:17], v[18:19], off glc slc
	v_mul_f64 v[20:21], v[10:11], -v[2:3]
	v_mul_f64 v[8:9], v[0:1], v[10:11]
	v_fmac_f64_e32 v[20:21], v[0:1], v[12:13]
	v_fmac_f64_e32 v[8:9], v[2:3], v[12:13]
	s_waitcnt vmcnt(0)
	v_fmac_f64_e32 v[20:21], v[4:5], v[14:15]
	v_fmac_f64_e32 v[8:9], v[6:7], v[14:15]
	v_fma_f64 v[6:7], -v[6:7], v[16:17], v[20:21]
	v_fmac_f64_e32 v[8:9], v[4:5], v[16:17]
	global_store_dwordx4 v[18:19], v[6:9], off glc slc
.LBB46_18:
	s_endpgm
	.section	.rodata,"a",@progbits
	.p2align	6, 0x0
	.amdhsa_kernel _ZN9rocsparseL13ellmvn_kernelILj512El21rocsparse_complex_numIfES1_IdES3_S3_EEvT0_S4_S4_NS_24const_host_device_scalarIT4_EEPKS4_PKT1_PKT2_S7_PT3_21rocsparse_index_base_b
		.amdhsa_group_segment_fixed_size 8192
		.amdhsa_private_segment_fixed_size 0
		.amdhsa_kernarg_size 96
		.amdhsa_user_sgpr_count 8
		.amdhsa_user_sgpr_private_segment_buffer 1
		.amdhsa_user_sgpr_dispatch_ptr 1
		.amdhsa_user_sgpr_queue_ptr 0
		.amdhsa_user_sgpr_kernarg_segment_ptr 1
		.amdhsa_user_sgpr_dispatch_id 0
		.amdhsa_user_sgpr_flat_scratch_init 0
		.amdhsa_user_sgpr_kernarg_preload_length 0
		.amdhsa_user_sgpr_kernarg_preload_offset 0
		.amdhsa_user_sgpr_private_segment_size 0
		.amdhsa_uses_dynamic_stack 0
		.amdhsa_system_sgpr_private_segment_wavefront_offset 0
		.amdhsa_system_sgpr_workgroup_id_x 1
		.amdhsa_system_sgpr_workgroup_id_y 0
		.amdhsa_system_sgpr_workgroup_id_z 0
		.amdhsa_system_sgpr_workgroup_info 0
		.amdhsa_system_vgpr_workitem_id 2
		.amdhsa_next_free_vgpr 26
		.amdhsa_next_free_sgpr 26
		.amdhsa_accum_offset 28
		.amdhsa_reserve_vcc 1
		.amdhsa_reserve_flat_scratch 0
		.amdhsa_float_round_mode_32 0
		.amdhsa_float_round_mode_16_64 0
		.amdhsa_float_denorm_mode_32 3
		.amdhsa_float_denorm_mode_16_64 3
		.amdhsa_dx10_clamp 1
		.amdhsa_ieee_mode 1
		.amdhsa_fp16_overflow 0
		.amdhsa_tg_split 0
		.amdhsa_exception_fp_ieee_invalid_op 0
		.amdhsa_exception_fp_denorm_src 0
		.amdhsa_exception_fp_ieee_div_zero 0
		.amdhsa_exception_fp_ieee_overflow 0
		.amdhsa_exception_fp_ieee_underflow 0
		.amdhsa_exception_fp_ieee_inexact 0
		.amdhsa_exception_int_div_zero 0
	.end_amdhsa_kernel
	.section	.text._ZN9rocsparseL13ellmvn_kernelILj512El21rocsparse_complex_numIfES1_IdES3_S3_EEvT0_S4_S4_NS_24const_host_device_scalarIT4_EEPKS4_PKT1_PKT2_S7_PT3_21rocsparse_index_base_b,"axG",@progbits,_ZN9rocsparseL13ellmvn_kernelILj512El21rocsparse_complex_numIfES1_IdES3_S3_EEvT0_S4_S4_NS_24const_host_device_scalarIT4_EEPKS4_PKT1_PKT2_S7_PT3_21rocsparse_index_base_b,comdat
.Lfunc_end46:
	.size	_ZN9rocsparseL13ellmvn_kernelILj512El21rocsparse_complex_numIfES1_IdES3_S3_EEvT0_S4_S4_NS_24const_host_device_scalarIT4_EEPKS4_PKT1_PKT2_S7_PT3_21rocsparse_index_base_b, .Lfunc_end46-_ZN9rocsparseL13ellmvn_kernelILj512El21rocsparse_complex_numIfES1_IdES3_S3_EEvT0_S4_S4_NS_24const_host_device_scalarIT4_EEPKS4_PKT1_PKT2_S7_PT3_21rocsparse_index_base_b
                                        ; -- End function
	.section	.AMDGPU.csdata,"",@progbits
; Kernel info:
; codeLenInByte = 856
; NumSgprs: 30
; NumVgprs: 26
; NumAgprs: 0
; TotalNumVgprs: 26
; ScratchSize: 0
; MemoryBound: 0
; FloatMode: 240
; IeeeMode: 1
; LDSByteSize: 8192 bytes/workgroup (compile time only)
; SGPRBlocks: 3
; VGPRBlocks: 3
; NumSGPRsForWavesPerEU: 30
; NumVGPRsForWavesPerEU: 26
; AccumOffset: 28
; Occupancy: 8
; WaveLimiterHint : 1
; COMPUTE_PGM_RSRC2:SCRATCH_EN: 0
; COMPUTE_PGM_RSRC2:USER_SGPR: 8
; COMPUTE_PGM_RSRC2:TRAP_HANDLER: 0
; COMPUTE_PGM_RSRC2:TGID_X_EN: 1
; COMPUTE_PGM_RSRC2:TGID_Y_EN: 0
; COMPUTE_PGM_RSRC2:TGID_Z_EN: 0
; COMPUTE_PGM_RSRC2:TIDIG_COMP_CNT: 2
; COMPUTE_PGM_RSRC3_GFX90A:ACCUM_OFFSET: 6
; COMPUTE_PGM_RSRC3_GFX90A:TG_SPLIT: 0
	.section	.text._ZN9rocsparseL13ellmvt_kernelILj1024El21rocsparse_complex_numIfES1_IdES3_S3_EEv20rocsparse_operation_T0_S5_S5_NS_24const_host_device_scalarIT4_EEPKS5_PKT1_PKT2_PT3_21rocsparse_index_base_b,"axG",@progbits,_ZN9rocsparseL13ellmvt_kernelILj1024El21rocsparse_complex_numIfES1_IdES3_S3_EEv20rocsparse_operation_T0_S5_S5_NS_24const_host_device_scalarIT4_EEPKS5_PKT1_PKT2_PT3_21rocsparse_index_base_b,comdat
	.globl	_ZN9rocsparseL13ellmvt_kernelILj1024El21rocsparse_complex_numIfES1_IdES3_S3_EEv20rocsparse_operation_T0_S5_S5_NS_24const_host_device_scalarIT4_EEPKS5_PKT1_PKT2_PT3_21rocsparse_index_base_b ; -- Begin function _ZN9rocsparseL13ellmvt_kernelILj1024El21rocsparse_complex_numIfES1_IdES3_S3_EEv20rocsparse_operation_T0_S5_S5_NS_24const_host_device_scalarIT4_EEPKS5_PKT1_PKT2_PT3_21rocsparse_index_base_b
	.p2align	8
	.type	_ZN9rocsparseL13ellmvt_kernelILj1024El21rocsparse_complex_numIfES1_IdES3_S3_EEv20rocsparse_operation_T0_S5_S5_NS_24const_host_device_scalarIT4_EEPKS5_PKT1_PKT2_PT3_21rocsparse_index_base_b,@function
_ZN9rocsparseL13ellmvt_kernelILj1024El21rocsparse_complex_numIfES1_IdES3_S3_EEv20rocsparse_operation_T0_S5_S5_NS_24const_host_device_scalarIT4_EEPKS5_PKT1_PKT2_PT3_21rocsparse_index_base_b: ; @_ZN9rocsparseL13ellmvt_kernelILj1024El21rocsparse_complex_numIfES1_IdES3_S3_EEv20rocsparse_operation_T0_S5_S5_NS_24const_host_device_scalarIT4_EEPKS5_PKT1_PKT2_PT3_21rocsparse_index_base_b
; %bb.0:
	s_load_dwordx2 s[2:3], s[6:7], 0x50
	s_load_dwordx2 s[0:1], s[4:5], 0x4
	s_load_dwordx8 s[12:19], s[6:7], 0x8
	v_and_b32_e32 v4, 0x3ff, v0
	v_bfe_u32 v2, v0, 10, 10
	s_waitcnt lgkmcnt(0)
	s_and_b32 s3, 1, s3
	s_lshr_b32 s0, s0, 16
	s_mul_i32 s0, s0, s1
	v_mul_lo_u32 v1, s0, v4
	s_cmp_eq_u32 s3, 1
	v_mad_u32_u24 v1, v2, s1, v1
	v_bfe_u32 v0, v0, 20, 10
	v_add_lshl_u32 v2, v1, v0, 3
	v_pk_mov_b32 v[0:1], s[18:19], s[18:19] op_sel:[0,1]
	s_cselect_b64 vcc, -1, 0
	ds_write_b64 v2, v[0:1]
	s_mov_b64 s[0:1], src_shared_base
	v_cndmask_b32_e32 v0, v0, v2, vcc
	s_and_b64 vcc, vcc, exec
	s_cselect_b32 s0, s1, s19
	v_mov_b32_e32 v1, s0
	flat_load_dwordx2 v[0:1], v[0:1]
	s_load_dwordx2 s[0:1], s[6:7], 0x28
	s_waitcnt lgkmcnt(0)
	v_pk_mov_b32 v[2:3], s[0:1], s[0:1] op_sel:[0,1]
	s_cbranch_vccnz .LBB47_2
; %bb.1:
	v_pk_mov_b32 v[2:3], s[18:19], s[18:19] op_sel:[0,1]
	flat_load_dwordx2 v[2:3], v[2:3] offset:8
.LBB47_2:
	s_waitcnt vmcnt(0)
	v_cmp_neq_f64_e32 vcc, 0, v[0:1]
	s_waitcnt lgkmcnt(0)
	v_cmp_neq_f64_e64 s[0:1], 0, v[2:3]
	s_or_b64 s[0:1], vcc, s[0:1]
	s_and_saveexec_b64 s[4:5], s[0:1]
	s_cbranch_execz .LBB47_13
; %bb.3:
	v_lshl_or_b32 v4, s8, 10, v4
	v_mov_b32_e32 v5, 0
	v_cmp_gt_i64_e32 vcc, s[12:13], v[4:5]
	s_and_b64 exec, exec, vcc
	s_cbranch_execz .LBB47_13
; %bb.4:
	v_cmp_lt_i64_e64 s[0:1], s[16:17], 1
	s_and_b64 vcc, exec, s[0:1]
	s_cbranch_vccnz .LBB47_13
; %bb.5:
	s_load_dwordx8 s[20:27], s[6:7], 0x30
	v_lshlrev_b64 v[6:7], 4, v[4:5]
	s_load_dword s0, s[6:7], 0x0
	s_mov_b32 s1, 0
	s_mov_b64 s[4:5], 0
	s_waitcnt lgkmcnt(0)
	v_mov_b32_e32 v8, s25
	v_add_co_u32_e32 v6, vcc, s24, v6
	v_addc_co_u32_e32 v7, vcc, v8, v7, vcc
	global_load_dwordx4 v[10:13], v[6:7], off
	s_cmpk_eq_i32 s0, 0x71
	v_mov_b32_e32 v18, s12
	v_mov_b32_e32 v19, s1
	;; [unrolled: 1-line block ×3, first 2 shown]
	s_cselect_b64 s[8:9], -1, 0
	s_mov_b64 s[10:11], 0
                                        ; implicit-def: $sgpr6_sgpr7
	s_waitcnt vmcnt(0)
	v_mul_f64 v[6:7], v[12:13], -v[2:3]
	v_mul_f64 v[8:9], v[0:1], v[12:13]
	v_fmac_f64_e32 v[6:7], v[0:1], v[10:11]
	v_fmac_f64_e32 v[8:9], v[2:3], v[10:11]
	s_branch .LBB47_7
.LBB47_6:                               ;   in Loop: Header=BB47_7 Depth=1
	s_or_b64 exec, exec, s[0:1]
	s_and_b64 s[0:1], exec, s[6:7]
	s_or_b64 s[4:5], s[0:1], s[4:5]
	s_andn2_b64 exec, exec, s[4:5]
	s_cbranch_execz .LBB47_13
.LBB47_7:                               ; =>This Loop Header: Depth=1
                                        ;     Child Loop BB47_9 Depth 2
                                        ;     Child Loop BB47_11 Depth 2
	s_mul_i32 s0, s11, s12
	s_mul_i32 s1, s10, s13
	s_add_i32 s3, s1, s0
	v_mad_u64_u32 v[0:1], s[0:1], s10, v18, v[4:5]
	v_add_u32_e32 v1, s3, v1
	v_lshlrev_b64 v[0:1], 3, v[0:1]
	v_add_co_u32_e32 v2, vcc, s20, v0
	v_addc_co_u32_e32 v3, vcc, v20, v1, vcc
	global_load_dwordx2 v[2:3], v[2:3], off glc slc
	s_or_b64 s[6:7], s[6:7], exec
	s_waitcnt vmcnt(0)
	v_subrev_co_u32_e32 v2, vcc, s2, v2
	v_subb_co_u32_e32 v3, vcc, v3, v19, vcc
	v_cmp_lt_i64_e32 vcc, -1, v[2:3]
	v_cmp_gt_i64_e64 s[0:1], s[14:15], v[2:3]
	s_and_b64 s[18:19], vcc, s[0:1]
	s_and_saveexec_b64 s[0:1], s[18:19]
	s_cbranch_execz .LBB47_6
; %bb.8:                                ;   in Loop: Header=BB47_7 Depth=1
	v_mov_b32_e32 v10, s23
	v_add_co_u32_e32 v0, vcc, s22, v0
	v_addc_co_u32_e32 v1, vcc, v10, v1, vcc
	global_load_dwordx2 v[0:1], v[0:1], off glc slc
	v_lshlrev_b64 v[2:3], 4, v[2:3]
	v_mov_b32_e32 v11, s27
	v_add_co_u32_e32 v10, vcc, s26, v2
	v_addc_co_u32_e32 v11, vcc, v11, v3, vcc
	global_load_dwordx2 v[2:3], v[10:11], off
	s_mov_b64 s[18:19], 0
	s_waitcnt vmcnt(1)
	v_cndmask_b32_e64 v1, v1, -v1, s[8:9]
	v_cvt_f64_f32_e32 v[14:15], v1
	v_cvt_f64_f32_e32 v[12:13], v0
	v_mul_f64 v[16:17], -v[8:9], v[14:15]
	v_fmac_f64_e32 v[16:17], v[6:7], v[12:13]
.LBB47_9:                               ;   Parent Loop BB47_7 Depth=1
                                        ; =>  This Inner Loop Header: Depth=2
	s_waitcnt vmcnt(0)
	v_add_f64 v[0:1], v[2:3], v[16:17]
	global_atomic_cmpswap_x2 v[0:1], v[10:11], v[0:3], off glc
	s_waitcnt vmcnt(0)
	v_cmp_eq_u64_e32 vcc, v[0:1], v[2:3]
	s_or_b64 s[18:19], vcc, s[18:19]
	v_pk_mov_b32 v[2:3], v[0:1], v[0:1] op_sel:[0,1]
	s_andn2_b64 exec, exec, s[18:19]
	s_cbranch_execnz .LBB47_9
; %bb.10:                               ;   in Loop: Header=BB47_7 Depth=1
	s_or_b64 exec, exec, s[18:19]
	global_load_dwordx2 v[2:3], v[10:11], off offset:8
	v_mul_f64 v[14:15], v[6:7], v[14:15]
	v_fmac_f64_e32 v[14:15], v[8:9], v[12:13]
	s_mov_b64 s[18:19], 0
.LBB47_11:                              ;   Parent Loop BB47_7 Depth=1
                                        ; =>  This Inner Loop Header: Depth=2
	s_waitcnt vmcnt(0)
	v_add_f64 v[0:1], v[2:3], v[14:15]
	global_atomic_cmpswap_x2 v[0:1], v[10:11], v[0:3], off offset:8 glc
	s_waitcnt vmcnt(0)
	v_cmp_eq_u64_e32 vcc, v[0:1], v[2:3]
	s_or_b64 s[18:19], vcc, s[18:19]
	v_pk_mov_b32 v[2:3], v[0:1], v[0:1] op_sel:[0,1]
	s_andn2_b64 exec, exec, s[18:19]
	s_cbranch_execnz .LBB47_11
; %bb.12:                               ;   in Loop: Header=BB47_7 Depth=1
	s_or_b64 exec, exec, s[18:19]
	s_add_u32 s10, s10, 1
	s_addc_u32 s11, s11, 0
	s_cmp_eq_u64 s[10:11], s[16:17]
	s_cselect_b64 s[18:19], -1, 0
	s_andn2_b64 s[6:7], s[6:7], exec
	s_and_b64 s[18:19], s[18:19], exec
	s_or_b64 s[6:7], s[6:7], s[18:19]
	s_branch .LBB47_6
.LBB47_13:
	s_endpgm
	.section	.rodata,"a",@progbits
	.p2align	6, 0x0
	.amdhsa_kernel _ZN9rocsparseL13ellmvt_kernelILj1024El21rocsparse_complex_numIfES1_IdES3_S3_EEv20rocsparse_operation_T0_S5_S5_NS_24const_host_device_scalarIT4_EEPKS5_PKT1_PKT2_PT3_21rocsparse_index_base_b
		.amdhsa_group_segment_fixed_size 8192
		.amdhsa_private_segment_fixed_size 0
		.amdhsa_kernarg_size 88
		.amdhsa_user_sgpr_count 8
		.amdhsa_user_sgpr_private_segment_buffer 1
		.amdhsa_user_sgpr_dispatch_ptr 1
		.amdhsa_user_sgpr_queue_ptr 0
		.amdhsa_user_sgpr_kernarg_segment_ptr 1
		.amdhsa_user_sgpr_dispatch_id 0
		.amdhsa_user_sgpr_flat_scratch_init 0
		.amdhsa_user_sgpr_kernarg_preload_length 0
		.amdhsa_user_sgpr_kernarg_preload_offset 0
		.amdhsa_user_sgpr_private_segment_size 0
		.amdhsa_uses_dynamic_stack 0
		.amdhsa_system_sgpr_private_segment_wavefront_offset 0
		.amdhsa_system_sgpr_workgroup_id_x 1
		.amdhsa_system_sgpr_workgroup_id_y 0
		.amdhsa_system_sgpr_workgroup_id_z 0
		.amdhsa_system_sgpr_workgroup_info 0
		.amdhsa_system_vgpr_workitem_id 2
		.amdhsa_next_free_vgpr 21
		.amdhsa_next_free_sgpr 28
		.amdhsa_accum_offset 24
		.amdhsa_reserve_vcc 1
		.amdhsa_reserve_flat_scratch 0
		.amdhsa_float_round_mode_32 0
		.amdhsa_float_round_mode_16_64 0
		.amdhsa_float_denorm_mode_32 3
		.amdhsa_float_denorm_mode_16_64 3
		.amdhsa_dx10_clamp 1
		.amdhsa_ieee_mode 1
		.amdhsa_fp16_overflow 0
		.amdhsa_tg_split 0
		.amdhsa_exception_fp_ieee_invalid_op 0
		.amdhsa_exception_fp_denorm_src 0
		.amdhsa_exception_fp_ieee_div_zero 0
		.amdhsa_exception_fp_ieee_overflow 0
		.amdhsa_exception_fp_ieee_underflow 0
		.amdhsa_exception_fp_ieee_inexact 0
		.amdhsa_exception_int_div_zero 0
	.end_amdhsa_kernel
	.section	.text._ZN9rocsparseL13ellmvt_kernelILj1024El21rocsparse_complex_numIfES1_IdES3_S3_EEv20rocsparse_operation_T0_S5_S5_NS_24const_host_device_scalarIT4_EEPKS5_PKT1_PKT2_PT3_21rocsparse_index_base_b,"axG",@progbits,_ZN9rocsparseL13ellmvt_kernelILj1024El21rocsparse_complex_numIfES1_IdES3_S3_EEv20rocsparse_operation_T0_S5_S5_NS_24const_host_device_scalarIT4_EEPKS5_PKT1_PKT2_PT3_21rocsparse_index_base_b,comdat
.Lfunc_end47:
	.size	_ZN9rocsparseL13ellmvt_kernelILj1024El21rocsparse_complex_numIfES1_IdES3_S3_EEv20rocsparse_operation_T0_S5_S5_NS_24const_host_device_scalarIT4_EEPKS5_PKT1_PKT2_PT3_21rocsparse_index_base_b, .Lfunc_end47-_ZN9rocsparseL13ellmvt_kernelILj1024El21rocsparse_complex_numIfES1_IdES3_S3_EEv20rocsparse_operation_T0_S5_S5_NS_24const_host_device_scalarIT4_EEPKS5_PKT1_PKT2_PT3_21rocsparse_index_base_b
                                        ; -- End function
	.section	.AMDGPU.csdata,"",@progbits
; Kernel info:
; codeLenInByte = 720
; NumSgprs: 32
; NumVgprs: 21
; NumAgprs: 0
; TotalNumVgprs: 21
; ScratchSize: 0
; MemoryBound: 0
; FloatMode: 240
; IeeeMode: 1
; LDSByteSize: 8192 bytes/workgroup (compile time only)
; SGPRBlocks: 3
; VGPRBlocks: 2
; NumSGPRsForWavesPerEU: 32
; NumVGPRsForWavesPerEU: 21
; AccumOffset: 24
; Occupancy: 8
; WaveLimiterHint : 1
; COMPUTE_PGM_RSRC2:SCRATCH_EN: 0
; COMPUTE_PGM_RSRC2:USER_SGPR: 8
; COMPUTE_PGM_RSRC2:TRAP_HANDLER: 0
; COMPUTE_PGM_RSRC2:TGID_X_EN: 1
; COMPUTE_PGM_RSRC2:TGID_Y_EN: 0
; COMPUTE_PGM_RSRC2:TGID_Z_EN: 0
; COMPUTE_PGM_RSRC2:TIDIG_COMP_CNT: 2
; COMPUTE_PGM_RSRC3_GFX90A:ACCUM_OFFSET: 5
; COMPUTE_PGM_RSRC3_GFX90A:TG_SPLIT: 0
	.text
	.p2alignl 6, 3212836864
	.fill 256, 4, 3212836864
	.type	__hip_cuid_b59ac4d55db32fcc,@object ; @__hip_cuid_b59ac4d55db32fcc
	.section	.bss,"aw",@nobits
	.globl	__hip_cuid_b59ac4d55db32fcc
__hip_cuid_b59ac4d55db32fcc:
	.byte	0                               ; 0x0
	.size	__hip_cuid_b59ac4d55db32fcc, 1

	.ident	"AMD clang version 19.0.0git (https://github.com/RadeonOpenCompute/llvm-project roc-6.4.0 25133 c7fe45cf4b819c5991fe208aaa96edf142730f1d)"
	.section	".note.GNU-stack","",@progbits
	.addrsig
	.addrsig_sym __hip_cuid_b59ac4d55db32fcc
	.amdgpu_metadata
---
amdhsa.kernels:
  - .agpr_count:     0
    .args:
      - .offset:         0
        .size:           4
        .value_kind:     by_value
      - .offset:         4
        .size:           4
        .value_kind:     by_value
      - .offset:         8
        .size:           4
        .value_kind:     by_value
      - .offset:         16
        .size:           8
        .value_kind:     by_value
      - .actual_access:  read_only
        .address_space:  global
        .offset:         24
        .size:           8
        .value_kind:     global_buffer
      - .actual_access:  read_only
        .address_space:  global
        .offset:         32
        .size:           8
        .value_kind:     global_buffer
      - .actual_access:  read_only
        .address_space:  global
        .offset:         40
        .size:           8
        .value_kind:     global_buffer
      - .offset:         48
        .size:           8
        .value_kind:     by_value
      - .address_space:  global
        .offset:         56
        .size:           8
        .value_kind:     global_buffer
      - .offset:         64
        .size:           4
        .value_kind:     by_value
      - .offset:         68
        .size:           1
        .value_kind:     by_value
    .group_segment_fixed_size: 0
    .kernarg_segment_align: 8
    .kernarg_segment_size: 72
    .language:       OpenCL C
    .language_version:
      - 2
      - 0
    .max_flat_workgroup_size: 512
    .name:           _ZN9rocsparseL13ellmvn_kernelILj512EiffffEEvT0_S1_S1_NS_24const_host_device_scalarIT4_EEPKS1_PKT1_PKT2_S4_PT3_21rocsparse_index_base_b
    .private_segment_fixed_size: 0
    .sgpr_count:     30
    .sgpr_spill_count: 0
    .symbol:         _ZN9rocsparseL13ellmvn_kernelILj512EiffffEEvT0_S1_S1_NS_24const_host_device_scalarIT4_EEPKS1_PKT1_PKT2_S4_PT3_21rocsparse_index_base_b.kd
    .uniform_work_group_size: 1
    .uses_dynamic_stack: false
    .vgpr_count:     14
    .vgpr_spill_count: 0
    .wavefront_size: 64
  - .agpr_count:     0
    .args:
      - .offset:         0
        .size:           4
        .value_kind:     by_value
      - .offset:         4
        .size:           4
        .value_kind:     by_value
      - .offset:         8
        .size:           4
        .value_kind:     by_value
      - .offset:         12
        .size:           4
        .value_kind:     by_value
      - .offset:         16
        .size:           8
        .value_kind:     by_value
      - .actual_access:  read_only
        .address_space:  global
        .offset:         24
        .size:           8
        .value_kind:     global_buffer
      - .actual_access:  read_only
        .address_space:  global
        .offset:         32
        .size:           8
        .value_kind:     global_buffer
      - .actual_access:  read_only
        .address_space:  global
        .offset:         40
        .size:           8
        .value_kind:     global_buffer
      - .address_space:  global
        .offset:         48
        .size:           8
        .value_kind:     global_buffer
      - .offset:         56
        .size:           4
        .value_kind:     by_value
      - .offset:         60
        .size:           1
        .value_kind:     by_value
    .group_segment_fixed_size: 0
    .kernarg_segment_align: 8
    .kernarg_segment_size: 64
    .language:       OpenCL C
    .language_version:
      - 2
      - 0
    .max_flat_workgroup_size: 1024
    .name:           _ZN9rocsparseL13ellmvt_kernelILj1024EiffffEEv20rocsparse_operation_T0_S2_S2_NS_24const_host_device_scalarIT4_EEPKS2_PKT1_PKT2_PT3_21rocsparse_index_base_b
    .private_segment_fixed_size: 0
    .sgpr_count:     24
    .sgpr_spill_count: 0
    .symbol:         _ZN9rocsparseL13ellmvt_kernelILj1024EiffffEEv20rocsparse_operation_T0_S2_S2_NS_24const_host_device_scalarIT4_EEPKS2_PKT1_PKT2_PT3_21rocsparse_index_base_b.kd
    .uniform_work_group_size: 1
    .uses_dynamic_stack: false
    .vgpr_count:     11
    .vgpr_spill_count: 0
    .wavefront_size: 64
  - .agpr_count:     0
    .args:
      - .offset:         0
        .size:           8
        .value_kind:     by_value
      - .offset:         8
        .size:           8
        .value_kind:     by_value
      - .offset:         16
        .size:           8
        .value_kind:     by_value
      - .offset:         24
        .size:           8
        .value_kind:     by_value
      - .actual_access:  read_only
        .address_space:  global
        .offset:         32
        .size:           8
        .value_kind:     global_buffer
      - .actual_access:  read_only
        .address_space:  global
        .offset:         40
        .size:           8
        .value_kind:     global_buffer
      - .actual_access:  read_only
        .address_space:  global
        .offset:         48
        .size:           8
        .value_kind:     global_buffer
      - .offset:         56
        .size:           8
        .value_kind:     by_value
      - .address_space:  global
        .offset:         64
        .size:           8
        .value_kind:     global_buffer
      - .offset:         72
        .size:           4
        .value_kind:     by_value
      - .offset:         76
        .size:           1
        .value_kind:     by_value
    .group_segment_fixed_size: 0
    .kernarg_segment_align: 8
    .kernarg_segment_size: 80
    .language:       OpenCL C
    .language_version:
      - 2
      - 0
    .max_flat_workgroup_size: 512
    .name:           _ZN9rocsparseL13ellmvn_kernelILj512ElffffEEvT0_S1_S1_NS_24const_host_device_scalarIT4_EEPKS1_PKT1_PKT2_S4_PT3_21rocsparse_index_base_b
    .private_segment_fixed_size: 0
    .sgpr_count:     30
    .sgpr_spill_count: 0
    .symbol:         _ZN9rocsparseL13ellmvn_kernelILj512ElffffEEvT0_S1_S1_NS_24const_host_device_scalarIT4_EEPKS1_PKT1_PKT2_S4_PT3_21rocsparse_index_base_b.kd
    .uniform_work_group_size: 1
    .uses_dynamic_stack: false
    .vgpr_count:     14
    .vgpr_spill_count: 0
    .wavefront_size: 64
  - .agpr_count:     0
    .args:
      - .offset:         0
        .size:           4
        .value_kind:     by_value
      - .offset:         8
        .size:           8
        .value_kind:     by_value
      - .offset:         16
        .size:           8
        .value_kind:     by_value
      - .offset:         24
        .size:           8
        .value_kind:     by_value
      - .offset:         32
        .size:           8
        .value_kind:     by_value
      - .actual_access:  read_only
        .address_space:  global
        .offset:         40
        .size:           8
        .value_kind:     global_buffer
      - .actual_access:  read_only
        .address_space:  global
        .offset:         48
        .size:           8
        .value_kind:     global_buffer
      - .actual_access:  read_only
        .address_space:  global
        .offset:         56
        .size:           8
        .value_kind:     global_buffer
      - .address_space:  global
        .offset:         64
        .size:           8
        .value_kind:     global_buffer
      - .offset:         72
        .size:           4
        .value_kind:     by_value
      - .offset:         76
        .size:           1
        .value_kind:     by_value
    .group_segment_fixed_size: 0
    .kernarg_segment_align: 8
    .kernarg_segment_size: 80
    .language:       OpenCL C
    .language_version:
      - 2
      - 0
    .max_flat_workgroup_size: 1024
    .name:           _ZN9rocsparseL13ellmvt_kernelILj1024ElffffEEv20rocsparse_operation_T0_S2_S2_NS_24const_host_device_scalarIT4_EEPKS2_PKT1_PKT2_PT3_21rocsparse_index_base_b
    .private_segment_fixed_size: 0
    .sgpr_count:     28
    .sgpr_spill_count: 0
    .symbol:         _ZN9rocsparseL13ellmvt_kernelILj1024ElffffEEv20rocsparse_operation_T0_S2_S2_NS_24const_host_device_scalarIT4_EEPKS2_PKT1_PKT2_PT3_21rocsparse_index_base_b.kd
    .uniform_work_group_size: 1
    .uses_dynamic_stack: false
    .vgpr_count:     11
    .vgpr_spill_count: 0
    .wavefront_size: 64
  - .agpr_count:     0
    .args:
      - .offset:         0
        .size:           4
        .value_kind:     by_value
      - .offset:         4
        .size:           4
        .value_kind:     by_value
      - .offset:         8
        .size:           4
        .value_kind:     by_value
      - .offset:         16
        .size:           8
        .value_kind:     by_value
      - .actual_access:  read_only
        .address_space:  global
        .offset:         24
        .size:           8
        .value_kind:     global_buffer
      - .actual_access:  read_only
        .address_space:  global
        .offset:         32
        .size:           8
        .value_kind:     global_buffer
      - .actual_access:  read_only
        .address_space:  global
        .offset:         40
        .size:           8
        .value_kind:     global_buffer
      - .offset:         48
        .size:           8
        .value_kind:     by_value
      - .address_space:  global
        .offset:         56
        .size:           8
        .value_kind:     global_buffer
      - .offset:         64
        .size:           4
        .value_kind:     by_value
      - .offset:         68
        .size:           1
        .value_kind:     by_value
    .group_segment_fixed_size: 0
    .kernarg_segment_align: 8
    .kernarg_segment_size: 72
    .language:       OpenCL C
    .language_version:
      - 2
      - 0
    .max_flat_workgroup_size: 512
    .name:           _ZN9rocsparseL13ellmvn_kernelILj512EiddddEEvT0_S1_S1_NS_24const_host_device_scalarIT4_EEPKS1_PKT1_PKT2_S4_PT3_21rocsparse_index_base_b
    .private_segment_fixed_size: 0
    .sgpr_count:     24
    .sgpr_spill_count: 0
    .symbol:         _ZN9rocsparseL13ellmvn_kernelILj512EiddddEEvT0_S1_S1_NS_24const_host_device_scalarIT4_EEPKS1_PKT1_PKT2_S4_PT3_21rocsparse_index_base_b.kd
    .uniform_work_group_size: 1
    .uses_dynamic_stack: false
    .vgpr_count:     22
    .vgpr_spill_count: 0
    .wavefront_size: 64
  - .agpr_count:     0
    .args:
      - .offset:         0
        .size:           4
        .value_kind:     by_value
      - .offset:         4
        .size:           4
        .value_kind:     by_value
      - .offset:         8
        .size:           4
        .value_kind:     by_value
      - .offset:         12
        .size:           4
        .value_kind:     by_value
      - .offset:         16
        .size:           8
        .value_kind:     by_value
      - .actual_access:  read_only
        .address_space:  global
        .offset:         24
        .size:           8
        .value_kind:     global_buffer
      - .actual_access:  read_only
        .address_space:  global
        .offset:         32
        .size:           8
        .value_kind:     global_buffer
      - .actual_access:  read_only
        .address_space:  global
        .offset:         40
        .size:           8
        .value_kind:     global_buffer
      - .address_space:  global
        .offset:         48
        .size:           8
        .value_kind:     global_buffer
      - .offset:         56
        .size:           4
        .value_kind:     by_value
      - .offset:         60
        .size:           1
        .value_kind:     by_value
    .group_segment_fixed_size: 0
    .kernarg_segment_align: 8
    .kernarg_segment_size: 64
    .language:       OpenCL C
    .language_version:
      - 2
      - 0
    .max_flat_workgroup_size: 1024
    .name:           _ZN9rocsparseL13ellmvt_kernelILj1024EiddddEEv20rocsparse_operation_T0_S2_S2_NS_24const_host_device_scalarIT4_EEPKS2_PKT1_PKT2_PT3_21rocsparse_index_base_b
    .private_segment_fixed_size: 0
    .sgpr_count:     24
    .sgpr_spill_count: 0
    .symbol:         _ZN9rocsparseL13ellmvt_kernelILj1024EiddddEEv20rocsparse_operation_T0_S2_S2_NS_24const_host_device_scalarIT4_EEPKS2_PKT1_PKT2_PT3_21rocsparse_index_base_b.kd
    .uniform_work_group_size: 1
    .uses_dynamic_stack: false
    .vgpr_count:     16
    .vgpr_spill_count: 0
    .wavefront_size: 64
  - .agpr_count:     0
    .args:
      - .offset:         0
        .size:           8
        .value_kind:     by_value
      - .offset:         8
        .size:           8
        .value_kind:     by_value
      - .offset:         16
        .size:           8
        .value_kind:     by_value
      - .offset:         24
        .size:           8
        .value_kind:     by_value
      - .actual_access:  read_only
        .address_space:  global
        .offset:         32
        .size:           8
        .value_kind:     global_buffer
      - .actual_access:  read_only
        .address_space:  global
        .offset:         40
        .size:           8
        .value_kind:     global_buffer
      - .actual_access:  read_only
        .address_space:  global
        .offset:         48
        .size:           8
        .value_kind:     global_buffer
      - .offset:         56
        .size:           8
        .value_kind:     by_value
      - .address_space:  global
        .offset:         64
        .size:           8
        .value_kind:     global_buffer
      - .offset:         72
        .size:           4
        .value_kind:     by_value
      - .offset:         76
        .size:           1
        .value_kind:     by_value
    .group_segment_fixed_size: 0
    .kernarg_segment_align: 8
    .kernarg_segment_size: 80
    .language:       OpenCL C
    .language_version:
      - 2
      - 0
    .max_flat_workgroup_size: 512
    .name:           _ZN9rocsparseL13ellmvn_kernelILj512ElddddEEvT0_S1_S1_NS_24const_host_device_scalarIT4_EEPKS1_PKT1_PKT2_S4_PT3_21rocsparse_index_base_b
    .private_segment_fixed_size: 0
    .sgpr_count:     28
    .sgpr_spill_count: 0
    .symbol:         _ZN9rocsparseL13ellmvn_kernelILj512ElddddEEvT0_S1_S1_NS_24const_host_device_scalarIT4_EEPKS1_PKT1_PKT2_S4_PT3_21rocsparse_index_base_b.kd
    .uniform_work_group_size: 1
    .uses_dynamic_stack: false
    .vgpr_count:     22
    .vgpr_spill_count: 0
    .wavefront_size: 64
  - .agpr_count:     0
    .args:
      - .offset:         0
        .size:           4
        .value_kind:     by_value
      - .offset:         8
        .size:           8
        .value_kind:     by_value
      - .offset:         16
        .size:           8
        .value_kind:     by_value
      - .offset:         24
        .size:           8
        .value_kind:     by_value
      - .offset:         32
        .size:           8
        .value_kind:     by_value
      - .actual_access:  read_only
        .address_space:  global
        .offset:         40
        .size:           8
        .value_kind:     global_buffer
      - .actual_access:  read_only
        .address_space:  global
        .offset:         48
        .size:           8
        .value_kind:     global_buffer
      - .actual_access:  read_only
        .address_space:  global
        .offset:         56
        .size:           8
        .value_kind:     global_buffer
      - .address_space:  global
        .offset:         64
        .size:           8
        .value_kind:     global_buffer
      - .offset:         72
        .size:           4
        .value_kind:     by_value
      - .offset:         76
        .size:           1
        .value_kind:     by_value
    .group_segment_fixed_size: 0
    .kernarg_segment_align: 8
    .kernarg_segment_size: 80
    .language:       OpenCL C
    .language_version:
      - 2
      - 0
    .max_flat_workgroup_size: 1024
    .name:           _ZN9rocsparseL13ellmvt_kernelILj1024ElddddEEv20rocsparse_operation_T0_S2_S2_NS_24const_host_device_scalarIT4_EEPKS2_PKT1_PKT2_PT3_21rocsparse_index_base_b
    .private_segment_fixed_size: 0
    .sgpr_count:     28
    .sgpr_spill_count: 0
    .symbol:         _ZN9rocsparseL13ellmvt_kernelILj1024ElddddEEv20rocsparse_operation_T0_S2_S2_NS_24const_host_device_scalarIT4_EEPKS2_PKT1_PKT2_PT3_21rocsparse_index_base_b.kd
    .uniform_work_group_size: 1
    .uses_dynamic_stack: false
    .vgpr_count:     15
    .vgpr_spill_count: 0
    .wavefront_size: 64
  - .agpr_count:     0
    .args:
      - .offset:         0
        .size:           4
        .value_kind:     by_value
      - .offset:         4
        .size:           4
        .value_kind:     by_value
      - .offset:         8
        .size:           4
        .value_kind:     by_value
      - .offset:         16
        .size:           8
        .value_kind:     by_value
      - .actual_access:  read_only
        .address_space:  global
        .offset:         24
        .size:           8
        .value_kind:     global_buffer
      - .actual_access:  read_only
        .address_space:  global
        .offset:         32
        .size:           8
        .value_kind:     global_buffer
      - .actual_access:  read_only
        .address_space:  global
        .offset:         40
        .size:           8
        .value_kind:     global_buffer
      - .offset:         48
        .size:           8
        .value_kind:     by_value
      - .address_space:  global
        .offset:         56
        .size:           8
        .value_kind:     global_buffer
      - .offset:         64
        .size:           4
        .value_kind:     by_value
      - .offset:         68
        .size:           1
        .value_kind:     by_value
    .group_segment_fixed_size: 0
    .kernarg_segment_align: 8
    .kernarg_segment_size: 72
    .language:       OpenCL C
    .language_version:
      - 2
      - 0
    .max_flat_workgroup_size: 512
    .name:           _ZN9rocsparseL13ellmvn_kernelILj512Ei21rocsparse_complex_numIfES2_S2_S2_EEvT0_S3_S3_NS_24const_host_device_scalarIT4_EEPKS3_PKT1_PKT2_S6_PT3_21rocsparse_index_base_b
    .private_segment_fixed_size: 0
    .sgpr_count:     26
    .sgpr_spill_count: 0
    .symbol:         _ZN9rocsparseL13ellmvn_kernelILj512Ei21rocsparse_complex_numIfES2_S2_S2_EEvT0_S3_S3_NS_24const_host_device_scalarIT4_EEPKS3_PKT1_PKT2_S6_PT3_21rocsparse_index_base_b.kd
    .uniform_work_group_size: 1
    .uses_dynamic_stack: false
    .vgpr_count:     20
    .vgpr_spill_count: 0
    .wavefront_size: 64
  - .agpr_count:     0
    .args:
      - .offset:         0
        .size:           4
        .value_kind:     by_value
      - .offset:         4
        .size:           4
        .value_kind:     by_value
      - .offset:         8
        .size:           4
        .value_kind:     by_value
      - .offset:         12
        .size:           4
        .value_kind:     by_value
      - .offset:         16
        .size:           8
        .value_kind:     by_value
      - .actual_access:  read_only
        .address_space:  global
        .offset:         24
        .size:           8
        .value_kind:     global_buffer
      - .actual_access:  read_only
        .address_space:  global
        .offset:         32
        .size:           8
        .value_kind:     global_buffer
      - .actual_access:  read_only
        .address_space:  global
        .offset:         40
        .size:           8
        .value_kind:     global_buffer
      - .address_space:  global
        .offset:         48
        .size:           8
        .value_kind:     global_buffer
      - .offset:         56
        .size:           4
        .value_kind:     by_value
      - .offset:         60
        .size:           1
        .value_kind:     by_value
    .group_segment_fixed_size: 0
    .kernarg_segment_align: 8
    .kernarg_segment_size: 64
    .language:       OpenCL C
    .language_version:
      - 2
      - 0
    .max_flat_workgroup_size: 1024
    .name:           _ZN9rocsparseL13ellmvt_kernelILj1024Ei21rocsparse_complex_numIfES2_S2_S2_EEv20rocsparse_operation_T0_S4_S4_NS_24const_host_device_scalarIT4_EEPKS4_PKT1_PKT2_PT3_21rocsparse_index_base_b
    .private_segment_fixed_size: 0
    .sgpr_count:     25
    .sgpr_spill_count: 0
    .symbol:         _ZN9rocsparseL13ellmvt_kernelILj1024Ei21rocsparse_complex_numIfES2_S2_S2_EEv20rocsparse_operation_T0_S4_S4_NS_24const_host_device_scalarIT4_EEPKS4_PKT1_PKT2_PT3_21rocsparse_index_base_b.kd
    .uniform_work_group_size: 1
    .uses_dynamic_stack: false
    .vgpr_count:     14
    .vgpr_spill_count: 0
    .wavefront_size: 64
  - .agpr_count:     0
    .args:
      - .offset:         0
        .size:           8
        .value_kind:     by_value
      - .offset:         8
        .size:           8
        .value_kind:     by_value
      - .offset:         16
        .size:           8
        .value_kind:     by_value
      - .offset:         24
        .size:           8
        .value_kind:     by_value
      - .actual_access:  read_only
        .address_space:  global
        .offset:         32
        .size:           8
        .value_kind:     global_buffer
      - .actual_access:  read_only
        .address_space:  global
        .offset:         40
        .size:           8
        .value_kind:     global_buffer
      - .actual_access:  read_only
        .address_space:  global
        .offset:         48
        .size:           8
        .value_kind:     global_buffer
      - .offset:         56
        .size:           8
        .value_kind:     by_value
      - .address_space:  global
        .offset:         64
        .size:           8
        .value_kind:     global_buffer
      - .offset:         72
        .size:           4
        .value_kind:     by_value
      - .offset:         76
        .size:           1
        .value_kind:     by_value
    .group_segment_fixed_size: 0
    .kernarg_segment_align: 8
    .kernarg_segment_size: 80
    .language:       OpenCL C
    .language_version:
      - 2
      - 0
    .max_flat_workgroup_size: 512
    .name:           _ZN9rocsparseL13ellmvn_kernelILj512El21rocsparse_complex_numIfES2_S2_S2_EEvT0_S3_S3_NS_24const_host_device_scalarIT4_EEPKS3_PKT1_PKT2_S6_PT3_21rocsparse_index_base_b
    .private_segment_fixed_size: 0
    .sgpr_count:     28
    .sgpr_spill_count: 0
    .symbol:         _ZN9rocsparseL13ellmvn_kernelILj512El21rocsparse_complex_numIfES2_S2_S2_EEvT0_S3_S3_NS_24const_host_device_scalarIT4_EEPKS3_PKT1_PKT2_S6_PT3_21rocsparse_index_base_b.kd
    .uniform_work_group_size: 1
    .uses_dynamic_stack: false
    .vgpr_count:     20
    .vgpr_spill_count: 0
    .wavefront_size: 64
  - .agpr_count:     0
    .args:
      - .offset:         0
        .size:           4
        .value_kind:     by_value
      - .offset:         8
        .size:           8
        .value_kind:     by_value
      - .offset:         16
        .size:           8
        .value_kind:     by_value
      - .offset:         24
        .size:           8
        .value_kind:     by_value
      - .offset:         32
        .size:           8
        .value_kind:     by_value
      - .actual_access:  read_only
        .address_space:  global
        .offset:         40
        .size:           8
        .value_kind:     global_buffer
      - .actual_access:  read_only
        .address_space:  global
        .offset:         48
        .size:           8
        .value_kind:     global_buffer
      - .actual_access:  read_only
        .address_space:  global
        .offset:         56
        .size:           8
        .value_kind:     global_buffer
      - .address_space:  global
        .offset:         64
        .size:           8
        .value_kind:     global_buffer
      - .offset:         72
        .size:           4
        .value_kind:     by_value
      - .offset:         76
        .size:           1
        .value_kind:     by_value
    .group_segment_fixed_size: 0
    .kernarg_segment_align: 8
    .kernarg_segment_size: 80
    .language:       OpenCL C
    .language_version:
      - 2
      - 0
    .max_flat_workgroup_size: 1024
    .name:           _ZN9rocsparseL13ellmvt_kernelILj1024El21rocsparse_complex_numIfES2_S2_S2_EEv20rocsparse_operation_T0_S4_S4_NS_24const_host_device_scalarIT4_EEPKS4_PKT1_PKT2_PT3_21rocsparse_index_base_b
    .private_segment_fixed_size: 0
    .sgpr_count:     30
    .sgpr_spill_count: 0
    .symbol:         _ZN9rocsparseL13ellmvt_kernelILj1024El21rocsparse_complex_numIfES2_S2_S2_EEv20rocsparse_operation_T0_S4_S4_NS_24const_host_device_scalarIT4_EEPKS4_PKT1_PKT2_PT3_21rocsparse_index_base_b.kd
    .uniform_work_group_size: 1
    .uses_dynamic_stack: false
    .vgpr_count:     14
    .vgpr_spill_count: 0
    .wavefront_size: 64
  - .agpr_count:     0
    .args:
      - .offset:         0
        .size:           4
        .value_kind:     by_value
      - .offset:         4
        .size:           4
        .value_kind:     by_value
      - .offset:         8
        .size:           4
        .value_kind:     by_value
      - .offset:         16
        .size:           16
        .value_kind:     by_value
      - .actual_access:  read_only
        .address_space:  global
        .offset:         32
        .size:           8
        .value_kind:     global_buffer
      - .actual_access:  read_only
        .address_space:  global
        .offset:         40
        .size:           8
        .value_kind:     global_buffer
      - .actual_access:  read_only
        .address_space:  global
        .offset:         48
        .size:           8
        .value_kind:     global_buffer
      - .offset:         56
        .size:           16
        .value_kind:     by_value
      - .address_space:  global
        .offset:         72
        .size:           8
        .value_kind:     global_buffer
      - .offset:         80
        .size:           4
        .value_kind:     by_value
      - .offset:         84
        .size:           1
        .value_kind:     by_value
    .group_segment_fixed_size: 8192
    .kernarg_segment_align: 8
    .kernarg_segment_size: 88
    .language:       OpenCL C
    .language_version:
      - 2
      - 0
    .max_flat_workgroup_size: 512
    .name:           _ZN9rocsparseL13ellmvn_kernelILj512Ei21rocsparse_complex_numIdES2_S2_S2_EEvT0_S3_S3_NS_24const_host_device_scalarIT4_EEPKS3_PKT1_PKT2_S6_PT3_21rocsparse_index_base_b
    .private_segment_fixed_size: 0
    .sgpr_count:     26
    .sgpr_spill_count: 0
    .symbol:         _ZN9rocsparseL13ellmvn_kernelILj512Ei21rocsparse_complex_numIdES2_S2_S2_EEvT0_S3_S3_NS_24const_host_device_scalarIT4_EEPKS3_PKT1_PKT2_S6_PT3_21rocsparse_index_base_b.kd
    .uniform_work_group_size: 1
    .uses_dynamic_stack: false
    .vgpr_count:     29
    .vgpr_spill_count: 0
    .wavefront_size: 64
  - .agpr_count:     0
    .args:
      - .offset:         0
        .size:           4
        .value_kind:     by_value
      - .offset:         4
        .size:           4
        .value_kind:     by_value
      - .offset:         8
        .size:           4
        .value_kind:     by_value
      - .offset:         12
        .size:           4
        .value_kind:     by_value
      - .offset:         16
        .size:           16
        .value_kind:     by_value
      - .actual_access:  read_only
        .address_space:  global
        .offset:         32
        .size:           8
        .value_kind:     global_buffer
      - .actual_access:  read_only
        .address_space:  global
        .offset:         40
        .size:           8
        .value_kind:     global_buffer
      - .actual_access:  read_only
        .address_space:  global
        .offset:         48
        .size:           8
        .value_kind:     global_buffer
      - .address_space:  global
        .offset:         56
        .size:           8
        .value_kind:     global_buffer
      - .offset:         64
        .size:           4
        .value_kind:     by_value
      - .offset:         68
        .size:           1
        .value_kind:     by_value
    .group_segment_fixed_size: 8192
    .kernarg_segment_align: 8
    .kernarg_segment_size: 72
    .language:       OpenCL C
    .language_version:
      - 2
      - 0
    .max_flat_workgroup_size: 1024
    .name:           _ZN9rocsparseL13ellmvt_kernelILj1024Ei21rocsparse_complex_numIdES2_S2_S2_EEv20rocsparse_operation_T0_S4_S4_NS_24const_host_device_scalarIT4_EEPKS4_PKT1_PKT2_PT3_21rocsparse_index_base_b
    .private_segment_fixed_size: 0
    .sgpr_count:     25
    .sgpr_spill_count: 0
    .symbol:         _ZN9rocsparseL13ellmvt_kernelILj1024Ei21rocsparse_complex_numIdES2_S2_S2_EEv20rocsparse_operation_T0_S4_S4_NS_24const_host_device_scalarIT4_EEPKS4_PKT1_PKT2_PT3_21rocsparse_index_base_b.kd
    .uniform_work_group_size: 1
    .uses_dynamic_stack: false
    .vgpr_count:     22
    .vgpr_spill_count: 0
    .wavefront_size: 64
  - .agpr_count:     0
    .args:
      - .offset:         0
        .size:           8
        .value_kind:     by_value
      - .offset:         8
        .size:           8
        .value_kind:     by_value
      - .offset:         16
        .size:           8
        .value_kind:     by_value
      - .offset:         24
        .size:           16
        .value_kind:     by_value
      - .actual_access:  read_only
        .address_space:  global
        .offset:         40
        .size:           8
        .value_kind:     global_buffer
      - .actual_access:  read_only
        .address_space:  global
        .offset:         48
        .size:           8
        .value_kind:     global_buffer
      - .actual_access:  read_only
        .address_space:  global
        .offset:         56
        .size:           8
        .value_kind:     global_buffer
      - .offset:         64
        .size:           16
        .value_kind:     by_value
      - .address_space:  global
        .offset:         80
        .size:           8
        .value_kind:     global_buffer
      - .offset:         88
        .size:           4
        .value_kind:     by_value
      - .offset:         92
        .size:           1
        .value_kind:     by_value
    .group_segment_fixed_size: 8192
    .kernarg_segment_align: 8
    .kernarg_segment_size: 96
    .language:       OpenCL C
    .language_version:
      - 2
      - 0
    .max_flat_workgroup_size: 512
    .name:           _ZN9rocsparseL13ellmvn_kernelILj512El21rocsparse_complex_numIdES2_S2_S2_EEvT0_S3_S3_NS_24const_host_device_scalarIT4_EEPKS3_PKT1_PKT2_S6_PT3_21rocsparse_index_base_b
    .private_segment_fixed_size: 0
    .sgpr_count:     30
    .sgpr_spill_count: 0
    .symbol:         _ZN9rocsparseL13ellmvn_kernelILj512El21rocsparse_complex_numIdES2_S2_S2_EEvT0_S3_S3_NS_24const_host_device_scalarIT4_EEPKS3_PKT1_PKT2_S6_PT3_21rocsparse_index_base_b.kd
    .uniform_work_group_size: 1
    .uses_dynamic_stack: false
    .vgpr_count:     30
    .vgpr_spill_count: 0
    .wavefront_size: 64
  - .agpr_count:     0
    .args:
      - .offset:         0
        .size:           4
        .value_kind:     by_value
      - .offset:         8
        .size:           8
        .value_kind:     by_value
      - .offset:         16
        .size:           8
        .value_kind:     by_value
      - .offset:         24
        .size:           8
        .value_kind:     by_value
      - .offset:         32
        .size:           16
        .value_kind:     by_value
      - .actual_access:  read_only
        .address_space:  global
        .offset:         48
        .size:           8
        .value_kind:     global_buffer
      - .actual_access:  read_only
        .address_space:  global
        .offset:         56
        .size:           8
        .value_kind:     global_buffer
      - .actual_access:  read_only
        .address_space:  global
        .offset:         64
        .size:           8
        .value_kind:     global_buffer
      - .address_space:  global
        .offset:         72
        .size:           8
        .value_kind:     global_buffer
      - .offset:         80
        .size:           4
        .value_kind:     by_value
      - .offset:         84
        .size:           1
        .value_kind:     by_value
    .group_segment_fixed_size: 8192
    .kernarg_segment_align: 8
    .kernarg_segment_size: 88
    .language:       OpenCL C
    .language_version:
      - 2
      - 0
    .max_flat_workgroup_size: 1024
    .name:           _ZN9rocsparseL13ellmvt_kernelILj1024El21rocsparse_complex_numIdES2_S2_S2_EEv20rocsparse_operation_T0_S4_S4_NS_24const_host_device_scalarIT4_EEPKS4_PKT1_PKT2_PT3_21rocsparse_index_base_b
    .private_segment_fixed_size: 0
    .sgpr_count:     32
    .sgpr_spill_count: 0
    .symbol:         _ZN9rocsparseL13ellmvt_kernelILj1024El21rocsparse_complex_numIdES2_S2_S2_EEv20rocsparse_operation_T0_S4_S4_NS_24const_host_device_scalarIT4_EEPKS4_PKT1_PKT2_PT3_21rocsparse_index_base_b.kd
    .uniform_work_group_size: 1
    .uses_dynamic_stack: false
    .vgpr_count:     21
    .vgpr_spill_count: 0
    .wavefront_size: 64
  - .agpr_count:     0
    .args:
      - .offset:         0
        .size:           4
        .value_kind:     by_value
      - .offset:         4
        .size:           4
        .value_kind:     by_value
      - .offset:         8
        .size:           4
        .value_kind:     by_value
      - .offset:         16
        .size:           8
        .value_kind:     by_value
      - .actual_access:  read_only
        .address_space:  global
        .offset:         24
        .size:           8
        .value_kind:     global_buffer
      - .actual_access:  read_only
        .address_space:  global
        .offset:         32
        .size:           8
        .value_kind:     global_buffer
      - .actual_access:  read_only
        .address_space:  global
        .offset:         40
        .size:           8
        .value_kind:     global_buffer
      - .offset:         48
        .size:           8
        .value_kind:     by_value
      - .address_space:  global
        .offset:         56
        .size:           8
        .value_kind:     global_buffer
      - .offset:         64
        .size:           4
        .value_kind:     by_value
      - .offset:         68
        .size:           1
        .value_kind:     by_value
    .group_segment_fixed_size: 0
    .kernarg_segment_align: 8
    .kernarg_segment_size: 72
    .language:       OpenCL C
    .language_version:
      - 2
      - 0
    .max_flat_workgroup_size: 512
    .name:           _ZN9rocsparseL13ellmvn_kernelILj512EiaaiiEEvT0_S1_S1_NS_24const_host_device_scalarIT4_EEPKS1_PKT1_PKT2_S4_PT3_21rocsparse_index_base_b
    .private_segment_fixed_size: 0
    .sgpr_count:     28
    .sgpr_spill_count: 0
    .symbol:         _ZN9rocsparseL13ellmvn_kernelILj512EiaaiiEEvT0_S1_S1_NS_24const_host_device_scalarIT4_EEPKS1_PKT1_PKT2_S4_PT3_21rocsparse_index_base_b.kd
    .uniform_work_group_size: 1
    .uses_dynamic_stack: false
    .vgpr_count:     12
    .vgpr_spill_count: 0
    .wavefront_size: 64
  - .agpr_count:     0
    .args:
      - .offset:         0
        .size:           4
        .value_kind:     by_value
      - .offset:         4
        .size:           4
        .value_kind:     by_value
      - .offset:         8
        .size:           4
        .value_kind:     by_value
      - .offset:         12
        .size:           4
        .value_kind:     by_value
      - .offset:         16
        .size:           8
        .value_kind:     by_value
      - .actual_access:  read_only
        .address_space:  global
        .offset:         24
        .size:           8
        .value_kind:     global_buffer
      - .actual_access:  read_only
        .address_space:  global
        .offset:         32
        .size:           8
        .value_kind:     global_buffer
      - .actual_access:  read_only
        .address_space:  global
        .offset:         40
        .size:           8
        .value_kind:     global_buffer
      - .address_space:  global
        .offset:         48
        .size:           8
        .value_kind:     global_buffer
      - .offset:         56
        .size:           4
        .value_kind:     by_value
      - .offset:         60
        .size:           1
        .value_kind:     by_value
    .group_segment_fixed_size: 0
    .kernarg_segment_align: 8
    .kernarg_segment_size: 64
    .language:       OpenCL C
    .language_version:
      - 2
      - 0
    .max_flat_workgroup_size: 1024
    .name:           _ZN9rocsparseL13ellmvt_kernelILj1024EiaaiiEEv20rocsparse_operation_T0_S2_S2_NS_24const_host_device_scalarIT4_EEPKS2_PKT1_PKT2_PT3_21rocsparse_index_base_b
    .private_segment_fixed_size: 0
    .sgpr_count:     24
    .sgpr_spill_count: 0
    .symbol:         _ZN9rocsparseL13ellmvt_kernelILj1024EiaaiiEEv20rocsparse_operation_T0_S2_S2_NS_24const_host_device_scalarIT4_EEPKS2_PKT1_PKT2_PT3_21rocsparse_index_base_b.kd
    .uniform_work_group_size: 1
    .uses_dynamic_stack: false
    .vgpr_count:     10
    .vgpr_spill_count: 0
    .wavefront_size: 64
  - .agpr_count:     0
    .args:
      - .offset:         0
        .size:           8
        .value_kind:     by_value
      - .offset:         8
        .size:           8
        .value_kind:     by_value
      - .offset:         16
        .size:           8
        .value_kind:     by_value
      - .offset:         24
        .size:           8
        .value_kind:     by_value
      - .actual_access:  read_only
        .address_space:  global
        .offset:         32
        .size:           8
        .value_kind:     global_buffer
      - .actual_access:  read_only
        .address_space:  global
        .offset:         40
        .size:           8
        .value_kind:     global_buffer
      - .actual_access:  read_only
        .address_space:  global
        .offset:         48
        .size:           8
        .value_kind:     global_buffer
      - .offset:         56
        .size:           8
        .value_kind:     by_value
      - .address_space:  global
        .offset:         64
        .size:           8
        .value_kind:     global_buffer
      - .offset:         72
        .size:           4
        .value_kind:     by_value
      - .offset:         76
        .size:           1
        .value_kind:     by_value
    .group_segment_fixed_size: 0
    .kernarg_segment_align: 8
    .kernarg_segment_size: 80
    .language:       OpenCL C
    .language_version:
      - 2
      - 0
    .max_flat_workgroup_size: 512
    .name:           _ZN9rocsparseL13ellmvn_kernelILj512ElaaiiEEvT0_S1_S1_NS_24const_host_device_scalarIT4_EEPKS1_PKT1_PKT2_S4_PT3_21rocsparse_index_base_b
    .private_segment_fixed_size: 0
    .sgpr_count:     28
    .sgpr_spill_count: 0
    .symbol:         _ZN9rocsparseL13ellmvn_kernelILj512ElaaiiEEvT0_S1_S1_NS_24const_host_device_scalarIT4_EEPKS1_PKT1_PKT2_S4_PT3_21rocsparse_index_base_b.kd
    .uniform_work_group_size: 1
    .uses_dynamic_stack: false
    .vgpr_count:     14
    .vgpr_spill_count: 0
    .wavefront_size: 64
  - .agpr_count:     0
    .args:
      - .offset:         0
        .size:           4
        .value_kind:     by_value
      - .offset:         8
        .size:           8
        .value_kind:     by_value
      - .offset:         16
        .size:           8
        .value_kind:     by_value
      - .offset:         24
        .size:           8
        .value_kind:     by_value
      - .offset:         32
        .size:           8
        .value_kind:     by_value
      - .actual_access:  read_only
        .address_space:  global
        .offset:         40
        .size:           8
        .value_kind:     global_buffer
      - .actual_access:  read_only
        .address_space:  global
        .offset:         48
        .size:           8
        .value_kind:     global_buffer
      - .actual_access:  read_only
        .address_space:  global
        .offset:         56
        .size:           8
        .value_kind:     global_buffer
      - .address_space:  global
        .offset:         64
        .size:           8
        .value_kind:     global_buffer
      - .offset:         72
        .size:           4
        .value_kind:     by_value
      - .offset:         76
        .size:           1
        .value_kind:     by_value
    .group_segment_fixed_size: 0
    .kernarg_segment_align: 8
    .kernarg_segment_size: 80
    .language:       OpenCL C
    .language_version:
      - 2
      - 0
    .max_flat_workgroup_size: 1024
    .name:           _ZN9rocsparseL13ellmvt_kernelILj1024ElaaiiEEv20rocsparse_operation_T0_S2_S2_NS_24const_host_device_scalarIT4_EEPKS2_PKT1_PKT2_PT3_21rocsparse_index_base_b
    .private_segment_fixed_size: 0
    .sgpr_count:     24
    .sgpr_spill_count: 0
    .symbol:         _ZN9rocsparseL13ellmvt_kernelILj1024ElaaiiEEv20rocsparse_operation_T0_S2_S2_NS_24const_host_device_scalarIT4_EEPKS2_PKT1_PKT2_PT3_21rocsparse_index_base_b.kd
    .uniform_work_group_size: 1
    .uses_dynamic_stack: false
    .vgpr_count:     10
    .vgpr_spill_count: 0
    .wavefront_size: 64
  - .agpr_count:     0
    .args:
      - .offset:         0
        .size:           4
        .value_kind:     by_value
      - .offset:         4
        .size:           4
        .value_kind:     by_value
      - .offset:         8
        .size:           4
        .value_kind:     by_value
      - .offset:         16
        .size:           8
        .value_kind:     by_value
      - .actual_access:  read_only
        .address_space:  global
        .offset:         24
        .size:           8
        .value_kind:     global_buffer
      - .actual_access:  read_only
        .address_space:  global
        .offset:         32
        .size:           8
        .value_kind:     global_buffer
      - .actual_access:  read_only
        .address_space:  global
        .offset:         40
        .size:           8
        .value_kind:     global_buffer
      - .offset:         48
        .size:           8
        .value_kind:     by_value
      - .address_space:  global
        .offset:         56
        .size:           8
        .value_kind:     global_buffer
      - .offset:         64
        .size:           4
        .value_kind:     by_value
      - .offset:         68
        .size:           1
        .value_kind:     by_value
    .group_segment_fixed_size: 0
    .kernarg_segment_align: 8
    .kernarg_segment_size: 72
    .language:       OpenCL C
    .language_version:
      - 2
      - 0
    .max_flat_workgroup_size: 512
    .name:           _ZN9rocsparseL13ellmvn_kernelILj512EiaaffEEvT0_S1_S1_NS_24const_host_device_scalarIT4_EEPKS1_PKT1_PKT2_S4_PT3_21rocsparse_index_base_b
    .private_segment_fixed_size: 0
    .sgpr_count:     28
    .sgpr_spill_count: 0
    .symbol:         _ZN9rocsparseL13ellmvn_kernelILj512EiaaffEEvT0_S1_S1_NS_24const_host_device_scalarIT4_EEPKS1_PKT1_PKT2_S4_PT3_21rocsparse_index_base_b.kd
    .uniform_work_group_size: 1
    .uses_dynamic_stack: false
    .vgpr_count:     12
    .vgpr_spill_count: 0
    .wavefront_size: 64
  - .agpr_count:     0
    .args:
      - .offset:         0
        .size:           4
        .value_kind:     by_value
      - .offset:         4
        .size:           4
        .value_kind:     by_value
      - .offset:         8
        .size:           4
        .value_kind:     by_value
      - .offset:         12
        .size:           4
        .value_kind:     by_value
      - .offset:         16
        .size:           8
        .value_kind:     by_value
      - .actual_access:  read_only
        .address_space:  global
        .offset:         24
        .size:           8
        .value_kind:     global_buffer
      - .actual_access:  read_only
        .address_space:  global
        .offset:         32
        .size:           8
        .value_kind:     global_buffer
      - .actual_access:  read_only
        .address_space:  global
        .offset:         40
        .size:           8
        .value_kind:     global_buffer
      - .address_space:  global
        .offset:         48
        .size:           8
        .value_kind:     global_buffer
      - .offset:         56
        .size:           4
        .value_kind:     by_value
      - .offset:         60
        .size:           1
        .value_kind:     by_value
    .group_segment_fixed_size: 0
    .kernarg_segment_align: 8
    .kernarg_segment_size: 64
    .language:       OpenCL C
    .language_version:
      - 2
      - 0
    .max_flat_workgroup_size: 1024
    .name:           _ZN9rocsparseL13ellmvt_kernelILj1024EiaaffEEv20rocsparse_operation_T0_S2_S2_NS_24const_host_device_scalarIT4_EEPKS2_PKT1_PKT2_PT3_21rocsparse_index_base_b
    .private_segment_fixed_size: 0
    .sgpr_count:     24
    .sgpr_spill_count: 0
    .symbol:         _ZN9rocsparseL13ellmvt_kernelILj1024EiaaffEEv20rocsparse_operation_T0_S2_S2_NS_24const_host_device_scalarIT4_EEPKS2_PKT1_PKT2_PT3_21rocsparse_index_base_b.kd
    .uniform_work_group_size: 1
    .uses_dynamic_stack: false
    .vgpr_count:     11
    .vgpr_spill_count: 0
    .wavefront_size: 64
  - .agpr_count:     0
    .args:
      - .offset:         0
        .size:           8
        .value_kind:     by_value
      - .offset:         8
        .size:           8
        .value_kind:     by_value
      - .offset:         16
        .size:           8
        .value_kind:     by_value
      - .offset:         24
        .size:           8
        .value_kind:     by_value
      - .actual_access:  read_only
        .address_space:  global
        .offset:         32
        .size:           8
        .value_kind:     global_buffer
      - .actual_access:  read_only
        .address_space:  global
        .offset:         40
        .size:           8
        .value_kind:     global_buffer
      - .actual_access:  read_only
        .address_space:  global
        .offset:         48
        .size:           8
        .value_kind:     global_buffer
      - .offset:         56
        .size:           8
        .value_kind:     by_value
      - .address_space:  global
        .offset:         64
        .size:           8
        .value_kind:     global_buffer
      - .offset:         72
        .size:           4
        .value_kind:     by_value
      - .offset:         76
        .size:           1
        .value_kind:     by_value
    .group_segment_fixed_size: 0
    .kernarg_segment_align: 8
    .kernarg_segment_size: 80
    .language:       OpenCL C
    .language_version:
      - 2
      - 0
    .max_flat_workgroup_size: 512
    .name:           _ZN9rocsparseL13ellmvn_kernelILj512ElaaffEEvT0_S1_S1_NS_24const_host_device_scalarIT4_EEPKS1_PKT1_PKT2_S4_PT3_21rocsparse_index_base_b
    .private_segment_fixed_size: 0
    .sgpr_count:     30
    .sgpr_spill_count: 0
    .symbol:         _ZN9rocsparseL13ellmvn_kernelILj512ElaaffEEvT0_S1_S1_NS_24const_host_device_scalarIT4_EEPKS1_PKT1_PKT2_S4_PT3_21rocsparse_index_base_b.kd
    .uniform_work_group_size: 1
    .uses_dynamic_stack: false
    .vgpr_count:     14
    .vgpr_spill_count: 0
    .wavefront_size: 64
  - .agpr_count:     0
    .args:
      - .offset:         0
        .size:           4
        .value_kind:     by_value
      - .offset:         8
        .size:           8
        .value_kind:     by_value
      - .offset:         16
        .size:           8
        .value_kind:     by_value
      - .offset:         24
        .size:           8
        .value_kind:     by_value
      - .offset:         32
        .size:           8
        .value_kind:     by_value
      - .actual_access:  read_only
        .address_space:  global
        .offset:         40
        .size:           8
        .value_kind:     global_buffer
      - .actual_access:  read_only
        .address_space:  global
        .offset:         48
        .size:           8
        .value_kind:     global_buffer
      - .actual_access:  read_only
        .address_space:  global
        .offset:         56
        .size:           8
        .value_kind:     global_buffer
      - .address_space:  global
        .offset:         64
        .size:           8
        .value_kind:     global_buffer
      - .offset:         72
        .size:           4
        .value_kind:     by_value
      - .offset:         76
        .size:           1
        .value_kind:     by_value
    .group_segment_fixed_size: 0
    .kernarg_segment_align: 8
    .kernarg_segment_size: 80
    .language:       OpenCL C
    .language_version:
      - 2
      - 0
    .max_flat_workgroup_size: 1024
    .name:           _ZN9rocsparseL13ellmvt_kernelILj1024ElaaffEEv20rocsparse_operation_T0_S2_S2_NS_24const_host_device_scalarIT4_EEPKS2_PKT1_PKT2_PT3_21rocsparse_index_base_b
    .private_segment_fixed_size: 0
    .sgpr_count:     28
    .sgpr_spill_count: 0
    .symbol:         _ZN9rocsparseL13ellmvt_kernelILj1024ElaaffEEv20rocsparse_operation_T0_S2_S2_NS_24const_host_device_scalarIT4_EEPKS2_PKT1_PKT2_PT3_21rocsparse_index_base_b.kd
    .uniform_work_group_size: 1
    .uses_dynamic_stack: false
    .vgpr_count:     11
    .vgpr_spill_count: 0
    .wavefront_size: 64
  - .agpr_count:     0
    .args:
      - .offset:         0
        .size:           4
        .value_kind:     by_value
      - .offset:         4
        .size:           4
        .value_kind:     by_value
      - .offset:         8
        .size:           4
        .value_kind:     by_value
      - .offset:         16
        .size:           8
        .value_kind:     by_value
      - .actual_access:  read_only
        .address_space:  global
        .offset:         24
        .size:           8
        .value_kind:     global_buffer
      - .actual_access:  read_only
        .address_space:  global
        .offset:         32
        .size:           8
        .value_kind:     global_buffer
      - .actual_access:  read_only
        .address_space:  global
        .offset:         40
        .size:           8
        .value_kind:     global_buffer
      - .offset:         48
        .size:           8
        .value_kind:     by_value
      - .address_space:  global
        .offset:         56
        .size:           8
        .value_kind:     global_buffer
      - .offset:         64
        .size:           4
        .value_kind:     by_value
      - .offset:         68
        .size:           1
        .value_kind:     by_value
    .group_segment_fixed_size: 0
    .kernarg_segment_align: 8
    .kernarg_segment_size: 72
    .language:       OpenCL C
    .language_version:
      - 2
      - 0
    .max_flat_workgroup_size: 512
    .name:           _ZN9rocsparseL13ellmvn_kernelILj512EiDF16_DF16_ffEEvT0_S1_S1_NS_24const_host_device_scalarIT4_EEPKS1_PKT1_PKT2_S4_PT3_21rocsparse_index_base_b
    .private_segment_fixed_size: 0
    .sgpr_count:     28
    .sgpr_spill_count: 0
    .symbol:         _ZN9rocsparseL13ellmvn_kernelILj512EiDF16_DF16_ffEEvT0_S1_S1_NS_24const_host_device_scalarIT4_EEPKS1_PKT1_PKT2_S4_PT3_21rocsparse_index_base_b.kd
    .uniform_work_group_size: 1
    .uses_dynamic_stack: false
    .vgpr_count:     14
    .vgpr_spill_count: 0
    .wavefront_size: 64
  - .agpr_count:     0
    .args:
      - .offset:         0
        .size:           4
        .value_kind:     by_value
      - .offset:         4
        .size:           4
        .value_kind:     by_value
      - .offset:         8
        .size:           4
        .value_kind:     by_value
      - .offset:         12
        .size:           4
        .value_kind:     by_value
      - .offset:         16
        .size:           8
        .value_kind:     by_value
      - .actual_access:  read_only
        .address_space:  global
        .offset:         24
        .size:           8
        .value_kind:     global_buffer
      - .actual_access:  read_only
        .address_space:  global
        .offset:         32
        .size:           8
        .value_kind:     global_buffer
      - .actual_access:  read_only
        .address_space:  global
        .offset:         40
        .size:           8
        .value_kind:     global_buffer
      - .address_space:  global
        .offset:         48
        .size:           8
        .value_kind:     global_buffer
      - .offset:         56
        .size:           4
        .value_kind:     by_value
      - .offset:         60
        .size:           1
        .value_kind:     by_value
    .group_segment_fixed_size: 0
    .kernarg_segment_align: 8
    .kernarg_segment_size: 64
    .language:       OpenCL C
    .language_version:
      - 2
      - 0
    .max_flat_workgroup_size: 1024
    .name:           _ZN9rocsparseL13ellmvt_kernelILj1024EiDF16_DF16_ffEEv20rocsparse_operation_T0_S2_S2_NS_24const_host_device_scalarIT4_EEPKS2_PKT1_PKT2_PT3_21rocsparse_index_base_b
    .private_segment_fixed_size: 0
    .sgpr_count:     24
    .sgpr_spill_count: 0
    .symbol:         _ZN9rocsparseL13ellmvt_kernelILj1024EiDF16_DF16_ffEEv20rocsparse_operation_T0_S2_S2_NS_24const_host_device_scalarIT4_EEPKS2_PKT1_PKT2_PT3_21rocsparse_index_base_b.kd
    .uniform_work_group_size: 1
    .uses_dynamic_stack: false
    .vgpr_count:     11
    .vgpr_spill_count: 0
    .wavefront_size: 64
  - .agpr_count:     0
    .args:
      - .offset:         0
        .size:           8
        .value_kind:     by_value
      - .offset:         8
        .size:           8
        .value_kind:     by_value
      - .offset:         16
        .size:           8
        .value_kind:     by_value
      - .offset:         24
        .size:           8
        .value_kind:     by_value
      - .actual_access:  read_only
        .address_space:  global
        .offset:         32
        .size:           8
        .value_kind:     global_buffer
      - .actual_access:  read_only
        .address_space:  global
        .offset:         40
        .size:           8
        .value_kind:     global_buffer
      - .actual_access:  read_only
        .address_space:  global
        .offset:         48
        .size:           8
        .value_kind:     global_buffer
      - .offset:         56
        .size:           8
        .value_kind:     by_value
      - .address_space:  global
        .offset:         64
        .size:           8
        .value_kind:     global_buffer
      - .offset:         72
        .size:           4
        .value_kind:     by_value
      - .offset:         76
        .size:           1
        .value_kind:     by_value
    .group_segment_fixed_size: 0
    .kernarg_segment_align: 8
    .kernarg_segment_size: 80
    .language:       OpenCL C
    .language_version:
      - 2
      - 0
    .max_flat_workgroup_size: 512
    .name:           _ZN9rocsparseL13ellmvn_kernelILj512ElDF16_DF16_ffEEvT0_S1_S1_NS_24const_host_device_scalarIT4_EEPKS1_PKT1_PKT2_S4_PT3_21rocsparse_index_base_b
    .private_segment_fixed_size: 0
    .sgpr_count:     30
    .sgpr_spill_count: 0
    .symbol:         _ZN9rocsparseL13ellmvn_kernelILj512ElDF16_DF16_ffEEvT0_S1_S1_NS_24const_host_device_scalarIT4_EEPKS1_PKT1_PKT2_S4_PT3_21rocsparse_index_base_b.kd
    .uniform_work_group_size: 1
    .uses_dynamic_stack: false
    .vgpr_count:     14
    .vgpr_spill_count: 0
    .wavefront_size: 64
  - .agpr_count:     0
    .args:
      - .offset:         0
        .size:           4
        .value_kind:     by_value
      - .offset:         8
        .size:           8
        .value_kind:     by_value
      - .offset:         16
        .size:           8
        .value_kind:     by_value
      - .offset:         24
        .size:           8
        .value_kind:     by_value
      - .offset:         32
        .size:           8
        .value_kind:     by_value
      - .actual_access:  read_only
        .address_space:  global
        .offset:         40
        .size:           8
        .value_kind:     global_buffer
      - .actual_access:  read_only
        .address_space:  global
        .offset:         48
        .size:           8
        .value_kind:     global_buffer
      - .actual_access:  read_only
        .address_space:  global
        .offset:         56
        .size:           8
        .value_kind:     global_buffer
      - .address_space:  global
        .offset:         64
        .size:           8
        .value_kind:     global_buffer
      - .offset:         72
        .size:           4
        .value_kind:     by_value
      - .offset:         76
        .size:           1
        .value_kind:     by_value
    .group_segment_fixed_size: 0
    .kernarg_segment_align: 8
    .kernarg_segment_size: 80
    .language:       OpenCL C
    .language_version:
      - 2
      - 0
    .max_flat_workgroup_size: 1024
    .name:           _ZN9rocsparseL13ellmvt_kernelILj1024ElDF16_DF16_ffEEv20rocsparse_operation_T0_S2_S2_NS_24const_host_device_scalarIT4_EEPKS2_PKT1_PKT2_PT3_21rocsparse_index_base_b
    .private_segment_fixed_size: 0
    .sgpr_count:     28
    .sgpr_spill_count: 0
    .symbol:         _ZN9rocsparseL13ellmvt_kernelILj1024ElDF16_DF16_ffEEv20rocsparse_operation_T0_S2_S2_NS_24const_host_device_scalarIT4_EEPKS2_PKT1_PKT2_PT3_21rocsparse_index_base_b.kd
    .uniform_work_group_size: 1
    .uses_dynamic_stack: false
    .vgpr_count:     11
    .vgpr_spill_count: 0
    .wavefront_size: 64
  - .agpr_count:     0
    .args:
      - .offset:         0
        .size:           4
        .value_kind:     by_value
      - .offset:         4
        .size:           4
        .value_kind:     by_value
      - .offset:         8
        .size:           4
        .value_kind:     by_value
      - .offset:         16
        .size:           8
        .value_kind:     by_value
      - .actual_access:  read_only
        .address_space:  global
        .offset:         24
        .size:           8
        .value_kind:     global_buffer
      - .actual_access:  read_only
        .address_space:  global
        .offset:         32
        .size:           8
        .value_kind:     global_buffer
      - .actual_access:  read_only
        .address_space:  global
        .offset:         40
        .size:           8
        .value_kind:     global_buffer
      - .offset:         48
        .size:           8
        .value_kind:     by_value
      - .address_space:  global
        .offset:         56
        .size:           8
        .value_kind:     global_buffer
      - .offset:         64
        .size:           4
        .value_kind:     by_value
      - .offset:         68
        .size:           1
        .value_kind:     by_value
    .group_segment_fixed_size: 0
    .kernarg_segment_align: 8
    .kernarg_segment_size: 72
    .language:       OpenCL C
    .language_version:
      - 2
      - 0
    .max_flat_workgroup_size: 512
    .name:           _ZN9rocsparseL13ellmvn_kernelILj512Ei18rocsparse_bfloat16S1_ffEEvT0_S2_S2_NS_24const_host_device_scalarIT4_EEPKS2_PKT1_PKT2_S5_PT3_21rocsparse_index_base_b
    .private_segment_fixed_size: 0
    .sgpr_count:     28
    .sgpr_spill_count: 0
    .symbol:         _ZN9rocsparseL13ellmvn_kernelILj512Ei18rocsparse_bfloat16S1_ffEEvT0_S2_S2_NS_24const_host_device_scalarIT4_EEPKS2_PKT1_PKT2_S5_PT3_21rocsparse_index_base_b.kd
    .uniform_work_group_size: 1
    .uses_dynamic_stack: false
    .vgpr_count:     14
    .vgpr_spill_count: 0
    .wavefront_size: 64
  - .agpr_count:     0
    .args:
      - .offset:         0
        .size:           4
        .value_kind:     by_value
      - .offset:         4
        .size:           4
        .value_kind:     by_value
      - .offset:         8
        .size:           4
        .value_kind:     by_value
      - .offset:         12
        .size:           4
        .value_kind:     by_value
      - .offset:         16
        .size:           8
        .value_kind:     by_value
      - .actual_access:  read_only
        .address_space:  global
        .offset:         24
        .size:           8
        .value_kind:     global_buffer
      - .actual_access:  read_only
        .address_space:  global
        .offset:         32
        .size:           8
        .value_kind:     global_buffer
      - .actual_access:  read_only
        .address_space:  global
        .offset:         40
        .size:           8
        .value_kind:     global_buffer
      - .address_space:  global
        .offset:         48
        .size:           8
        .value_kind:     global_buffer
      - .offset:         56
        .size:           4
        .value_kind:     by_value
      - .offset:         60
        .size:           1
        .value_kind:     by_value
    .group_segment_fixed_size: 0
    .kernarg_segment_align: 8
    .kernarg_segment_size: 64
    .language:       OpenCL C
    .language_version:
      - 2
      - 0
    .max_flat_workgroup_size: 1024
    .name:           _ZN9rocsparseL13ellmvt_kernelILj1024Ei18rocsparse_bfloat16S1_ffEEv20rocsparse_operation_T0_S3_S3_NS_24const_host_device_scalarIT4_EEPKS3_PKT1_PKT2_PT3_21rocsparse_index_base_b
    .private_segment_fixed_size: 0
    .sgpr_count:     24
    .sgpr_spill_count: 0
    .symbol:         _ZN9rocsparseL13ellmvt_kernelILj1024Ei18rocsparse_bfloat16S1_ffEEv20rocsparse_operation_T0_S3_S3_NS_24const_host_device_scalarIT4_EEPKS3_PKT1_PKT2_PT3_21rocsparse_index_base_b.kd
    .uniform_work_group_size: 1
    .uses_dynamic_stack: false
    .vgpr_count:     12
    .vgpr_spill_count: 0
    .wavefront_size: 64
  - .agpr_count:     0
    .args:
      - .offset:         0
        .size:           8
        .value_kind:     by_value
      - .offset:         8
        .size:           8
        .value_kind:     by_value
      - .offset:         16
        .size:           8
        .value_kind:     by_value
      - .offset:         24
        .size:           8
        .value_kind:     by_value
      - .actual_access:  read_only
        .address_space:  global
        .offset:         32
        .size:           8
        .value_kind:     global_buffer
      - .actual_access:  read_only
        .address_space:  global
        .offset:         40
        .size:           8
        .value_kind:     global_buffer
      - .actual_access:  read_only
        .address_space:  global
        .offset:         48
        .size:           8
        .value_kind:     global_buffer
      - .offset:         56
        .size:           8
        .value_kind:     by_value
      - .address_space:  global
        .offset:         64
        .size:           8
        .value_kind:     global_buffer
      - .offset:         72
        .size:           4
        .value_kind:     by_value
      - .offset:         76
        .size:           1
        .value_kind:     by_value
    .group_segment_fixed_size: 0
    .kernarg_segment_align: 8
    .kernarg_segment_size: 80
    .language:       OpenCL C
    .language_version:
      - 2
      - 0
    .max_flat_workgroup_size: 512
    .name:           _ZN9rocsparseL13ellmvn_kernelILj512El18rocsparse_bfloat16S1_ffEEvT0_S2_S2_NS_24const_host_device_scalarIT4_EEPKS2_PKT1_PKT2_S5_PT3_21rocsparse_index_base_b
    .private_segment_fixed_size: 0
    .sgpr_count:     30
    .sgpr_spill_count: 0
    .symbol:         _ZN9rocsparseL13ellmvn_kernelILj512El18rocsparse_bfloat16S1_ffEEvT0_S2_S2_NS_24const_host_device_scalarIT4_EEPKS2_PKT1_PKT2_S5_PT3_21rocsparse_index_base_b.kd
    .uniform_work_group_size: 1
    .uses_dynamic_stack: false
    .vgpr_count:     14
    .vgpr_spill_count: 0
    .wavefront_size: 64
  - .agpr_count:     0
    .args:
      - .offset:         0
        .size:           4
        .value_kind:     by_value
      - .offset:         8
        .size:           8
        .value_kind:     by_value
      - .offset:         16
        .size:           8
        .value_kind:     by_value
      - .offset:         24
        .size:           8
        .value_kind:     by_value
      - .offset:         32
        .size:           8
        .value_kind:     by_value
      - .actual_access:  read_only
        .address_space:  global
        .offset:         40
        .size:           8
        .value_kind:     global_buffer
      - .actual_access:  read_only
        .address_space:  global
        .offset:         48
        .size:           8
        .value_kind:     global_buffer
      - .actual_access:  read_only
        .address_space:  global
        .offset:         56
        .size:           8
        .value_kind:     global_buffer
      - .address_space:  global
        .offset:         64
        .size:           8
        .value_kind:     global_buffer
      - .offset:         72
        .size:           4
        .value_kind:     by_value
      - .offset:         76
        .size:           1
        .value_kind:     by_value
    .group_segment_fixed_size: 0
    .kernarg_segment_align: 8
    .kernarg_segment_size: 80
    .language:       OpenCL C
    .language_version:
      - 2
      - 0
    .max_flat_workgroup_size: 1024
    .name:           _ZN9rocsparseL13ellmvt_kernelILj1024El18rocsparse_bfloat16S1_ffEEv20rocsparse_operation_T0_S3_S3_NS_24const_host_device_scalarIT4_EEPKS3_PKT1_PKT2_PT3_21rocsparse_index_base_b
    .private_segment_fixed_size: 0
    .sgpr_count:     28
    .sgpr_spill_count: 0
    .symbol:         _ZN9rocsparseL13ellmvt_kernelILj1024El18rocsparse_bfloat16S1_ffEEv20rocsparse_operation_T0_S3_S3_NS_24const_host_device_scalarIT4_EEPKS3_PKT1_PKT2_PT3_21rocsparse_index_base_b.kd
    .uniform_work_group_size: 1
    .uses_dynamic_stack: false
    .vgpr_count:     12
    .vgpr_spill_count: 0
    .wavefront_size: 64
  - .agpr_count:     0
    .args:
      - .offset:         0
        .size:           4
        .value_kind:     by_value
      - .offset:         4
        .size:           4
        .value_kind:     by_value
      - .offset:         8
        .size:           4
        .value_kind:     by_value
      - .offset:         16
        .size:           8
        .value_kind:     by_value
      - .actual_access:  read_only
        .address_space:  global
        .offset:         24
        .size:           8
        .value_kind:     global_buffer
      - .actual_access:  read_only
        .address_space:  global
        .offset:         32
        .size:           8
        .value_kind:     global_buffer
      - .actual_access:  read_only
        .address_space:  global
        .offset:         40
        .size:           8
        .value_kind:     global_buffer
      - .offset:         48
        .size:           8
        .value_kind:     by_value
      - .address_space:  global
        .offset:         56
        .size:           8
        .value_kind:     global_buffer
      - .offset:         64
        .size:           4
        .value_kind:     by_value
      - .offset:         68
        .size:           1
        .value_kind:     by_value
    .group_segment_fixed_size: 0
    .kernarg_segment_align: 8
    .kernarg_segment_size: 72
    .language:       OpenCL C
    .language_version:
      - 2
      - 0
    .max_flat_workgroup_size: 512
    .name:           _ZN9rocsparseL13ellmvn_kernelILj512Eif21rocsparse_complex_numIfES2_S2_EEvT0_S3_S3_NS_24const_host_device_scalarIT4_EEPKS3_PKT1_PKT2_S6_PT3_21rocsparse_index_base_b
    .private_segment_fixed_size: 0
    .sgpr_count:     28
    .sgpr_spill_count: 0
    .symbol:         _ZN9rocsparseL13ellmvn_kernelILj512Eif21rocsparse_complex_numIfES2_S2_EEvT0_S3_S3_NS_24const_host_device_scalarIT4_EEPKS3_PKT1_PKT2_S6_PT3_21rocsparse_index_base_b.kd
    .uniform_work_group_size: 1
    .uses_dynamic_stack: false
    .vgpr_count:     20
    .vgpr_spill_count: 0
    .wavefront_size: 64
  - .agpr_count:     0
    .args:
      - .offset:         0
        .size:           4
        .value_kind:     by_value
      - .offset:         4
        .size:           4
        .value_kind:     by_value
      - .offset:         8
        .size:           4
        .value_kind:     by_value
      - .offset:         12
        .size:           4
        .value_kind:     by_value
      - .offset:         16
        .size:           8
        .value_kind:     by_value
      - .actual_access:  read_only
        .address_space:  global
        .offset:         24
        .size:           8
        .value_kind:     global_buffer
      - .actual_access:  read_only
        .address_space:  global
        .offset:         32
        .size:           8
        .value_kind:     global_buffer
      - .actual_access:  read_only
        .address_space:  global
        .offset:         40
        .size:           8
        .value_kind:     global_buffer
      - .address_space:  global
        .offset:         48
        .size:           8
        .value_kind:     global_buffer
      - .offset:         56
        .size:           4
        .value_kind:     by_value
      - .offset:         60
        .size:           1
        .value_kind:     by_value
    .group_segment_fixed_size: 0
    .kernarg_segment_align: 8
    .kernarg_segment_size: 64
    .language:       OpenCL C
    .language_version:
      - 2
      - 0
    .max_flat_workgroup_size: 1024
    .name:           _ZN9rocsparseL13ellmvt_kernelILj1024Eif21rocsparse_complex_numIfES2_S2_EEv20rocsparse_operation_T0_S4_S4_NS_24const_host_device_scalarIT4_EEPKS4_PKT1_PKT2_PT3_21rocsparse_index_base_b
    .private_segment_fixed_size: 0
    .sgpr_count:     24
    .sgpr_spill_count: 0
    .symbol:         _ZN9rocsparseL13ellmvt_kernelILj1024Eif21rocsparse_complex_numIfES2_S2_EEv20rocsparse_operation_T0_S4_S4_NS_24const_host_device_scalarIT4_EEPKS4_PKT1_PKT2_PT3_21rocsparse_index_base_b.kd
    .uniform_work_group_size: 1
    .uses_dynamic_stack: false
    .vgpr_count:     15
    .vgpr_spill_count: 0
    .wavefront_size: 64
  - .agpr_count:     0
    .args:
      - .offset:         0
        .size:           8
        .value_kind:     by_value
      - .offset:         8
        .size:           8
        .value_kind:     by_value
      - .offset:         16
        .size:           8
        .value_kind:     by_value
      - .offset:         24
        .size:           8
        .value_kind:     by_value
      - .actual_access:  read_only
        .address_space:  global
        .offset:         32
        .size:           8
        .value_kind:     global_buffer
      - .actual_access:  read_only
        .address_space:  global
        .offset:         40
        .size:           8
        .value_kind:     global_buffer
      - .actual_access:  read_only
        .address_space:  global
        .offset:         48
        .size:           8
        .value_kind:     global_buffer
      - .offset:         56
        .size:           8
        .value_kind:     by_value
      - .address_space:  global
        .offset:         64
        .size:           8
        .value_kind:     global_buffer
      - .offset:         72
        .size:           4
        .value_kind:     by_value
      - .offset:         76
        .size:           1
        .value_kind:     by_value
    .group_segment_fixed_size: 0
    .kernarg_segment_align: 8
    .kernarg_segment_size: 80
    .language:       OpenCL C
    .language_version:
      - 2
      - 0
    .max_flat_workgroup_size: 512
    .name:           _ZN9rocsparseL13ellmvn_kernelILj512Elf21rocsparse_complex_numIfES2_S2_EEvT0_S3_S3_NS_24const_host_device_scalarIT4_EEPKS3_PKT1_PKT2_S6_PT3_21rocsparse_index_base_b
    .private_segment_fixed_size: 0
    .sgpr_count:     26
    .sgpr_spill_count: 0
    .symbol:         _ZN9rocsparseL13ellmvn_kernelILj512Elf21rocsparse_complex_numIfES2_S2_EEvT0_S3_S3_NS_24const_host_device_scalarIT4_EEPKS3_PKT1_PKT2_S6_PT3_21rocsparse_index_base_b.kd
    .uniform_work_group_size: 1
    .uses_dynamic_stack: false
    .vgpr_count:     20
    .vgpr_spill_count: 0
    .wavefront_size: 64
  - .agpr_count:     0
    .args:
      - .offset:         0
        .size:           4
        .value_kind:     by_value
      - .offset:         8
        .size:           8
        .value_kind:     by_value
      - .offset:         16
        .size:           8
        .value_kind:     by_value
      - .offset:         24
        .size:           8
        .value_kind:     by_value
      - .offset:         32
        .size:           8
        .value_kind:     by_value
      - .actual_access:  read_only
        .address_space:  global
        .offset:         40
        .size:           8
        .value_kind:     global_buffer
      - .actual_access:  read_only
        .address_space:  global
        .offset:         48
        .size:           8
        .value_kind:     global_buffer
      - .actual_access:  read_only
        .address_space:  global
        .offset:         56
        .size:           8
        .value_kind:     global_buffer
      - .address_space:  global
        .offset:         64
        .size:           8
        .value_kind:     global_buffer
      - .offset:         72
        .size:           4
        .value_kind:     by_value
      - .offset:         76
        .size:           1
        .value_kind:     by_value
    .group_segment_fixed_size: 0
    .kernarg_segment_align: 8
    .kernarg_segment_size: 80
    .language:       OpenCL C
    .language_version:
      - 2
      - 0
    .max_flat_workgroup_size: 1024
    .name:           _ZN9rocsparseL13ellmvt_kernelILj1024Elf21rocsparse_complex_numIfES2_S2_EEv20rocsparse_operation_T0_S4_S4_NS_24const_host_device_scalarIT4_EEPKS4_PKT1_PKT2_PT3_21rocsparse_index_base_b
    .private_segment_fixed_size: 0
    .sgpr_count:     28
    .sgpr_spill_count: 0
    .symbol:         _ZN9rocsparseL13ellmvt_kernelILj1024Elf21rocsparse_complex_numIfES2_S2_EEv20rocsparse_operation_T0_S4_S4_NS_24const_host_device_scalarIT4_EEPKS4_PKT1_PKT2_PT3_21rocsparse_index_base_b.kd
    .uniform_work_group_size: 1
    .uses_dynamic_stack: false
    .vgpr_count:     15
    .vgpr_spill_count: 0
    .wavefront_size: 64
  - .agpr_count:     0
    .args:
      - .offset:         0
        .size:           4
        .value_kind:     by_value
      - .offset:         4
        .size:           4
        .value_kind:     by_value
      - .offset:         8
        .size:           4
        .value_kind:     by_value
      - .offset:         16
        .size:           16
        .value_kind:     by_value
      - .actual_access:  read_only
        .address_space:  global
        .offset:         32
        .size:           8
        .value_kind:     global_buffer
      - .actual_access:  read_only
        .address_space:  global
        .offset:         40
        .size:           8
        .value_kind:     global_buffer
      - .actual_access:  read_only
        .address_space:  global
        .offset:         48
        .size:           8
        .value_kind:     global_buffer
      - .offset:         56
        .size:           16
        .value_kind:     by_value
      - .address_space:  global
        .offset:         72
        .size:           8
        .value_kind:     global_buffer
      - .offset:         80
        .size:           4
        .value_kind:     by_value
      - .offset:         84
        .size:           1
        .value_kind:     by_value
    .group_segment_fixed_size: 8192
    .kernarg_segment_align: 8
    .kernarg_segment_size: 88
    .language:       OpenCL C
    .language_version:
      - 2
      - 0
    .max_flat_workgroup_size: 512
    .name:           _ZN9rocsparseL13ellmvn_kernelILj512Eid21rocsparse_complex_numIdES2_S2_EEvT0_S3_S3_NS_24const_host_device_scalarIT4_EEPKS3_PKT1_PKT2_S6_PT3_21rocsparse_index_base_b
    .private_segment_fixed_size: 0
    .sgpr_count:     26
    .sgpr_spill_count: 0
    .symbol:         _ZN9rocsparseL13ellmvn_kernelILj512Eid21rocsparse_complex_numIdES2_S2_EEvT0_S3_S3_NS_24const_host_device_scalarIT4_EEPKS3_PKT1_PKT2_S6_PT3_21rocsparse_index_base_b.kd
    .uniform_work_group_size: 1
    .uses_dynamic_stack: false
    .vgpr_count:     27
    .vgpr_spill_count: 0
    .wavefront_size: 64
  - .agpr_count:     0
    .args:
      - .offset:         0
        .size:           4
        .value_kind:     by_value
      - .offset:         4
        .size:           4
        .value_kind:     by_value
      - .offset:         8
        .size:           4
        .value_kind:     by_value
      - .offset:         12
        .size:           4
        .value_kind:     by_value
      - .offset:         16
        .size:           16
        .value_kind:     by_value
      - .actual_access:  read_only
        .address_space:  global
        .offset:         32
        .size:           8
        .value_kind:     global_buffer
      - .actual_access:  read_only
        .address_space:  global
        .offset:         40
        .size:           8
        .value_kind:     global_buffer
      - .actual_access:  read_only
        .address_space:  global
        .offset:         48
        .size:           8
        .value_kind:     global_buffer
      - .address_space:  global
        .offset:         56
        .size:           8
        .value_kind:     global_buffer
      - .offset:         64
        .size:           4
        .value_kind:     by_value
      - .offset:         68
        .size:           1
        .value_kind:     by_value
    .group_segment_fixed_size: 8192
    .kernarg_segment_align: 8
    .kernarg_segment_size: 72
    .language:       OpenCL C
    .language_version:
      - 2
      - 0
    .max_flat_workgroup_size: 1024
    .name:           _ZN9rocsparseL13ellmvt_kernelILj1024Eid21rocsparse_complex_numIdES2_S2_EEv20rocsparse_operation_T0_S4_S4_NS_24const_host_device_scalarIT4_EEPKS4_PKT1_PKT2_PT3_21rocsparse_index_base_b
    .private_segment_fixed_size: 0
    .sgpr_count:     24
    .sgpr_spill_count: 0
    .symbol:         _ZN9rocsparseL13ellmvt_kernelILj1024Eid21rocsparse_complex_numIdES2_S2_EEv20rocsparse_operation_T0_S4_S4_NS_24const_host_device_scalarIT4_EEPKS4_PKT1_PKT2_PT3_21rocsparse_index_base_b.kd
    .uniform_work_group_size: 1
    .uses_dynamic_stack: false
    .vgpr_count:     24
    .vgpr_spill_count: 0
    .wavefront_size: 64
  - .agpr_count:     0
    .args:
      - .offset:         0
        .size:           8
        .value_kind:     by_value
      - .offset:         8
        .size:           8
        .value_kind:     by_value
      - .offset:         16
        .size:           8
        .value_kind:     by_value
      - .offset:         24
        .size:           16
        .value_kind:     by_value
      - .actual_access:  read_only
        .address_space:  global
        .offset:         40
        .size:           8
        .value_kind:     global_buffer
      - .actual_access:  read_only
        .address_space:  global
        .offset:         48
        .size:           8
        .value_kind:     global_buffer
      - .actual_access:  read_only
        .address_space:  global
        .offset:         56
        .size:           8
        .value_kind:     global_buffer
      - .offset:         64
        .size:           16
        .value_kind:     by_value
      - .address_space:  global
        .offset:         80
        .size:           8
        .value_kind:     global_buffer
      - .offset:         88
        .size:           4
        .value_kind:     by_value
      - .offset:         92
        .size:           1
        .value_kind:     by_value
    .group_segment_fixed_size: 8192
    .kernarg_segment_align: 8
    .kernarg_segment_size: 96
    .language:       OpenCL C
    .language_version:
      - 2
      - 0
    .max_flat_workgroup_size: 512
    .name:           _ZN9rocsparseL13ellmvn_kernelILj512Eld21rocsparse_complex_numIdES2_S2_EEvT0_S3_S3_NS_24const_host_device_scalarIT4_EEPKS3_PKT1_PKT2_S6_PT3_21rocsparse_index_base_b
    .private_segment_fixed_size: 0
    .sgpr_count:     30
    .sgpr_spill_count: 0
    .symbol:         _ZN9rocsparseL13ellmvn_kernelILj512Eld21rocsparse_complex_numIdES2_S2_EEvT0_S3_S3_NS_24const_host_device_scalarIT4_EEPKS3_PKT1_PKT2_S6_PT3_21rocsparse_index_base_b.kd
    .uniform_work_group_size: 1
    .uses_dynamic_stack: false
    .vgpr_count:     26
    .vgpr_spill_count: 0
    .wavefront_size: 64
  - .agpr_count:     0
    .args:
      - .offset:         0
        .size:           4
        .value_kind:     by_value
      - .offset:         8
        .size:           8
        .value_kind:     by_value
      - .offset:         16
        .size:           8
        .value_kind:     by_value
      - .offset:         24
        .size:           8
        .value_kind:     by_value
      - .offset:         32
        .size:           16
        .value_kind:     by_value
      - .actual_access:  read_only
        .address_space:  global
        .offset:         48
        .size:           8
        .value_kind:     global_buffer
      - .actual_access:  read_only
        .address_space:  global
        .offset:         56
        .size:           8
        .value_kind:     global_buffer
      - .actual_access:  read_only
        .address_space:  global
        .offset:         64
        .size:           8
        .value_kind:     global_buffer
      - .address_space:  global
        .offset:         72
        .size:           8
        .value_kind:     global_buffer
      - .offset:         80
        .size:           4
        .value_kind:     by_value
      - .offset:         84
        .size:           1
        .value_kind:     by_value
    .group_segment_fixed_size: 8192
    .kernarg_segment_align: 8
    .kernarg_segment_size: 88
    .language:       OpenCL C
    .language_version:
      - 2
      - 0
    .max_flat_workgroup_size: 1024
    .name:           _ZN9rocsparseL13ellmvt_kernelILj1024Eld21rocsparse_complex_numIdES2_S2_EEv20rocsparse_operation_T0_S4_S4_NS_24const_host_device_scalarIT4_EEPKS4_PKT1_PKT2_PT3_21rocsparse_index_base_b
    .private_segment_fixed_size: 0
    .sgpr_count:     28
    .sgpr_spill_count: 0
    .symbol:         _ZN9rocsparseL13ellmvt_kernelILj1024Eld21rocsparse_complex_numIdES2_S2_EEv20rocsparse_operation_T0_S4_S4_NS_24const_host_device_scalarIT4_EEPKS4_PKT1_PKT2_PT3_21rocsparse_index_base_b.kd
    .uniform_work_group_size: 1
    .uses_dynamic_stack: false
    .vgpr_count:     23
    .vgpr_spill_count: 0
    .wavefront_size: 64
  - .agpr_count:     0
    .args:
      - .offset:         0
        .size:           4
        .value_kind:     by_value
      - .offset:         4
        .size:           4
        .value_kind:     by_value
      - .offset:         8
        .size:           4
        .value_kind:     by_value
      - .offset:         16
        .size:           8
        .value_kind:     by_value
      - .actual_access:  read_only
        .address_space:  global
        .offset:         24
        .size:           8
        .value_kind:     global_buffer
      - .actual_access:  read_only
        .address_space:  global
        .offset:         32
        .size:           8
        .value_kind:     global_buffer
      - .actual_access:  read_only
        .address_space:  global
        .offset:         40
        .size:           8
        .value_kind:     global_buffer
      - .offset:         48
        .size:           8
        .value_kind:     by_value
      - .address_space:  global
        .offset:         56
        .size:           8
        .value_kind:     global_buffer
      - .offset:         64
        .size:           4
        .value_kind:     by_value
      - .offset:         68
        .size:           1
        .value_kind:     by_value
    .group_segment_fixed_size: 0
    .kernarg_segment_align: 8
    .kernarg_segment_size: 72
    .language:       OpenCL C
    .language_version:
      - 2
      - 0
    .max_flat_workgroup_size: 512
    .name:           _ZN9rocsparseL13ellmvn_kernelILj512EifdddEEvT0_S1_S1_NS_24const_host_device_scalarIT4_EEPKS1_PKT1_PKT2_S4_PT3_21rocsparse_index_base_b
    .private_segment_fixed_size: 0
    .sgpr_count:     26
    .sgpr_spill_count: 0
    .symbol:         _ZN9rocsparseL13ellmvn_kernelILj512EifdddEEvT0_S1_S1_NS_24const_host_device_scalarIT4_EEPKS1_PKT1_PKT2_S4_PT3_21rocsparse_index_base_b.kd
    .uniform_work_group_size: 1
    .uses_dynamic_stack: false
    .vgpr_count:     20
    .vgpr_spill_count: 0
    .wavefront_size: 64
  - .agpr_count:     0
    .args:
      - .offset:         0
        .size:           4
        .value_kind:     by_value
      - .offset:         4
        .size:           4
        .value_kind:     by_value
      - .offset:         8
        .size:           4
        .value_kind:     by_value
      - .offset:         12
        .size:           4
        .value_kind:     by_value
      - .offset:         16
        .size:           8
        .value_kind:     by_value
      - .actual_access:  read_only
        .address_space:  global
        .offset:         24
        .size:           8
        .value_kind:     global_buffer
      - .actual_access:  read_only
        .address_space:  global
        .offset:         32
        .size:           8
        .value_kind:     global_buffer
      - .actual_access:  read_only
        .address_space:  global
        .offset:         40
        .size:           8
        .value_kind:     global_buffer
      - .address_space:  global
        .offset:         48
        .size:           8
        .value_kind:     global_buffer
      - .offset:         56
        .size:           4
        .value_kind:     by_value
      - .offset:         60
        .size:           1
        .value_kind:     by_value
    .group_segment_fixed_size: 0
    .kernarg_segment_align: 8
    .kernarg_segment_size: 64
    .language:       OpenCL C
    .language_version:
      - 2
      - 0
    .max_flat_workgroup_size: 1024
    .name:           _ZN9rocsparseL13ellmvt_kernelILj1024EifdddEEv20rocsparse_operation_T0_S2_S2_NS_24const_host_device_scalarIT4_EEPKS2_PKT1_PKT2_PT3_21rocsparse_index_base_b
    .private_segment_fixed_size: 0
    .sgpr_count:     24
    .sgpr_spill_count: 0
    .symbol:         _ZN9rocsparseL13ellmvt_kernelILj1024EifdddEEv20rocsparse_operation_T0_S2_S2_NS_24const_host_device_scalarIT4_EEPKS2_PKT1_PKT2_PT3_21rocsparse_index_base_b.kd
    .uniform_work_group_size: 1
    .uses_dynamic_stack: false
    .vgpr_count:     16
    .vgpr_spill_count: 0
    .wavefront_size: 64
  - .agpr_count:     0
    .args:
      - .offset:         0
        .size:           8
        .value_kind:     by_value
      - .offset:         8
        .size:           8
        .value_kind:     by_value
      - .offset:         16
        .size:           8
        .value_kind:     by_value
      - .offset:         24
        .size:           8
        .value_kind:     by_value
      - .actual_access:  read_only
        .address_space:  global
        .offset:         32
        .size:           8
        .value_kind:     global_buffer
      - .actual_access:  read_only
        .address_space:  global
        .offset:         40
        .size:           8
        .value_kind:     global_buffer
      - .actual_access:  read_only
        .address_space:  global
        .offset:         48
        .size:           8
        .value_kind:     global_buffer
      - .offset:         56
        .size:           8
        .value_kind:     by_value
      - .address_space:  global
        .offset:         64
        .size:           8
        .value_kind:     global_buffer
      - .offset:         72
        .size:           4
        .value_kind:     by_value
      - .offset:         76
        .size:           1
        .value_kind:     by_value
    .group_segment_fixed_size: 0
    .kernarg_segment_align: 8
    .kernarg_segment_size: 80
    .language:       OpenCL C
    .language_version:
      - 2
      - 0
    .max_flat_workgroup_size: 512
    .name:           _ZN9rocsparseL13ellmvn_kernelILj512ElfdddEEvT0_S1_S1_NS_24const_host_device_scalarIT4_EEPKS1_PKT1_PKT2_S4_PT3_21rocsparse_index_base_b
    .private_segment_fixed_size: 0
    .sgpr_count:     26
    .sgpr_spill_count: 0
    .symbol:         _ZN9rocsparseL13ellmvn_kernelILj512ElfdddEEvT0_S1_S1_NS_24const_host_device_scalarIT4_EEPKS1_PKT1_PKT2_S4_PT3_21rocsparse_index_base_b.kd
    .uniform_work_group_size: 1
    .uses_dynamic_stack: false
    .vgpr_count:     20
    .vgpr_spill_count: 0
    .wavefront_size: 64
  - .agpr_count:     0
    .args:
      - .offset:         0
        .size:           4
        .value_kind:     by_value
      - .offset:         8
        .size:           8
        .value_kind:     by_value
      - .offset:         16
        .size:           8
        .value_kind:     by_value
      - .offset:         24
        .size:           8
        .value_kind:     by_value
      - .offset:         32
        .size:           8
        .value_kind:     by_value
      - .actual_access:  read_only
        .address_space:  global
        .offset:         40
        .size:           8
        .value_kind:     global_buffer
      - .actual_access:  read_only
        .address_space:  global
        .offset:         48
        .size:           8
        .value_kind:     global_buffer
      - .actual_access:  read_only
        .address_space:  global
        .offset:         56
        .size:           8
        .value_kind:     global_buffer
      - .address_space:  global
        .offset:         64
        .size:           8
        .value_kind:     global_buffer
      - .offset:         72
        .size:           4
        .value_kind:     by_value
      - .offset:         76
        .size:           1
        .value_kind:     by_value
    .group_segment_fixed_size: 0
    .kernarg_segment_align: 8
    .kernarg_segment_size: 80
    .language:       OpenCL C
    .language_version:
      - 2
      - 0
    .max_flat_workgroup_size: 1024
    .name:           _ZN9rocsparseL13ellmvt_kernelILj1024ElfdddEEv20rocsparse_operation_T0_S2_S2_NS_24const_host_device_scalarIT4_EEPKS2_PKT1_PKT2_PT3_21rocsparse_index_base_b
    .private_segment_fixed_size: 0
    .sgpr_count:     28
    .sgpr_spill_count: 0
    .symbol:         _ZN9rocsparseL13ellmvt_kernelILj1024ElfdddEEv20rocsparse_operation_T0_S2_S2_NS_24const_host_device_scalarIT4_EEPKS2_PKT1_PKT2_PT3_21rocsparse_index_base_b.kd
    .uniform_work_group_size: 1
    .uses_dynamic_stack: false
    .vgpr_count:     15
    .vgpr_spill_count: 0
    .wavefront_size: 64
  - .agpr_count:     0
    .args:
      - .offset:         0
        .size:           4
        .value_kind:     by_value
      - .offset:         4
        .size:           4
        .value_kind:     by_value
      - .offset:         8
        .size:           4
        .value_kind:     by_value
      - .offset:         16
        .size:           16
        .value_kind:     by_value
      - .actual_access:  read_only
        .address_space:  global
        .offset:         32
        .size:           8
        .value_kind:     global_buffer
      - .actual_access:  read_only
        .address_space:  global
        .offset:         40
        .size:           8
        .value_kind:     global_buffer
      - .actual_access:  read_only
        .address_space:  global
        .offset:         48
        .size:           8
        .value_kind:     global_buffer
      - .offset:         56
        .size:           16
        .value_kind:     by_value
      - .address_space:  global
        .offset:         72
        .size:           8
        .value_kind:     global_buffer
      - .offset:         80
        .size:           4
        .value_kind:     by_value
      - .offset:         84
        .size:           1
        .value_kind:     by_value
    .group_segment_fixed_size: 8192
    .kernarg_segment_align: 8
    .kernarg_segment_size: 88
    .language:       OpenCL C
    .language_version:
      - 2
      - 0
    .max_flat_workgroup_size: 512
    .name:           _ZN9rocsparseL13ellmvn_kernelILj512Ei21rocsparse_complex_numIfES1_IdES3_S3_EEvT0_S4_S4_NS_24const_host_device_scalarIT4_EEPKS4_PKT1_PKT2_S7_PT3_21rocsparse_index_base_b
    .private_segment_fixed_size: 0
    .sgpr_count:     26
    .sgpr_spill_count: 0
    .symbol:         _ZN9rocsparseL13ellmvn_kernelILj512Ei21rocsparse_complex_numIfES1_IdES3_S3_EEvT0_S4_S4_NS_24const_host_device_scalarIT4_EEPKS4_PKT1_PKT2_S7_PT3_21rocsparse_index_base_b.kd
    .uniform_work_group_size: 1
    .uses_dynamic_stack: false
    .vgpr_count:     28
    .vgpr_spill_count: 0
    .wavefront_size: 64
  - .agpr_count:     0
    .args:
      - .offset:         0
        .size:           4
        .value_kind:     by_value
      - .offset:         4
        .size:           4
        .value_kind:     by_value
      - .offset:         8
        .size:           4
        .value_kind:     by_value
      - .offset:         12
        .size:           4
        .value_kind:     by_value
      - .offset:         16
        .size:           16
        .value_kind:     by_value
      - .actual_access:  read_only
        .address_space:  global
        .offset:         32
        .size:           8
        .value_kind:     global_buffer
      - .actual_access:  read_only
        .address_space:  global
        .offset:         40
        .size:           8
        .value_kind:     global_buffer
      - .actual_access:  read_only
        .address_space:  global
        .offset:         48
        .size:           8
        .value_kind:     global_buffer
      - .address_space:  global
        .offset:         56
        .size:           8
        .value_kind:     global_buffer
      - .offset:         64
        .size:           4
        .value_kind:     by_value
      - .offset:         68
        .size:           1
        .value_kind:     by_value
    .group_segment_fixed_size: 8192
    .kernarg_segment_align: 8
    .kernarg_segment_size: 72
    .language:       OpenCL C
    .language_version:
      - 2
      - 0
    .max_flat_workgroup_size: 1024
    .name:           _ZN9rocsparseL13ellmvt_kernelILj1024Ei21rocsparse_complex_numIfES1_IdES3_S3_EEv20rocsparse_operation_T0_S5_S5_NS_24const_host_device_scalarIT4_EEPKS5_PKT1_PKT2_PT3_21rocsparse_index_base_b
    .private_segment_fixed_size: 0
    .sgpr_count:     25
    .sgpr_spill_count: 0
    .symbol:         _ZN9rocsparseL13ellmvt_kernelILj1024Ei21rocsparse_complex_numIfES1_IdES3_S3_EEv20rocsparse_operation_T0_S5_S5_NS_24const_host_device_scalarIT4_EEPKS5_PKT1_PKT2_PT3_21rocsparse_index_base_b.kd
    .uniform_work_group_size: 1
    .uses_dynamic_stack: false
    .vgpr_count:     22
    .vgpr_spill_count: 0
    .wavefront_size: 64
  - .agpr_count:     0
    .args:
      - .offset:         0
        .size:           8
        .value_kind:     by_value
      - .offset:         8
        .size:           8
        .value_kind:     by_value
      - .offset:         16
        .size:           8
        .value_kind:     by_value
      - .offset:         24
        .size:           16
        .value_kind:     by_value
      - .actual_access:  read_only
        .address_space:  global
        .offset:         40
        .size:           8
        .value_kind:     global_buffer
      - .actual_access:  read_only
        .address_space:  global
        .offset:         48
        .size:           8
        .value_kind:     global_buffer
      - .actual_access:  read_only
        .address_space:  global
        .offset:         56
        .size:           8
        .value_kind:     global_buffer
      - .offset:         64
        .size:           16
        .value_kind:     by_value
      - .address_space:  global
        .offset:         80
        .size:           8
        .value_kind:     global_buffer
      - .offset:         88
        .size:           4
        .value_kind:     by_value
      - .offset:         92
        .size:           1
        .value_kind:     by_value
    .group_segment_fixed_size: 8192
    .kernarg_segment_align: 8
    .kernarg_segment_size: 96
    .language:       OpenCL C
    .language_version:
      - 2
      - 0
    .max_flat_workgroup_size: 512
    .name:           _ZN9rocsparseL13ellmvn_kernelILj512El21rocsparse_complex_numIfES1_IdES3_S3_EEvT0_S4_S4_NS_24const_host_device_scalarIT4_EEPKS4_PKT1_PKT2_S7_PT3_21rocsparse_index_base_b
    .private_segment_fixed_size: 0
    .sgpr_count:     30
    .sgpr_spill_count: 0
    .symbol:         _ZN9rocsparseL13ellmvn_kernelILj512El21rocsparse_complex_numIfES1_IdES3_S3_EEvT0_S4_S4_NS_24const_host_device_scalarIT4_EEPKS4_PKT1_PKT2_S7_PT3_21rocsparse_index_base_b.kd
    .uniform_work_group_size: 1
    .uses_dynamic_stack: false
    .vgpr_count:     26
    .vgpr_spill_count: 0
    .wavefront_size: 64
  - .agpr_count:     0
    .args:
      - .offset:         0
        .size:           4
        .value_kind:     by_value
      - .offset:         8
        .size:           8
        .value_kind:     by_value
      - .offset:         16
        .size:           8
        .value_kind:     by_value
      - .offset:         24
        .size:           8
        .value_kind:     by_value
      - .offset:         32
        .size:           16
        .value_kind:     by_value
      - .actual_access:  read_only
        .address_space:  global
        .offset:         48
        .size:           8
        .value_kind:     global_buffer
      - .actual_access:  read_only
        .address_space:  global
        .offset:         56
        .size:           8
        .value_kind:     global_buffer
      - .actual_access:  read_only
        .address_space:  global
        .offset:         64
        .size:           8
        .value_kind:     global_buffer
      - .address_space:  global
        .offset:         72
        .size:           8
        .value_kind:     global_buffer
      - .offset:         80
        .size:           4
        .value_kind:     by_value
      - .offset:         84
        .size:           1
        .value_kind:     by_value
    .group_segment_fixed_size: 8192
    .kernarg_segment_align: 8
    .kernarg_segment_size: 88
    .language:       OpenCL C
    .language_version:
      - 2
      - 0
    .max_flat_workgroup_size: 1024
    .name:           _ZN9rocsparseL13ellmvt_kernelILj1024El21rocsparse_complex_numIfES1_IdES3_S3_EEv20rocsparse_operation_T0_S5_S5_NS_24const_host_device_scalarIT4_EEPKS5_PKT1_PKT2_PT3_21rocsparse_index_base_b
    .private_segment_fixed_size: 0
    .sgpr_count:     32
    .sgpr_spill_count: 0
    .symbol:         _ZN9rocsparseL13ellmvt_kernelILj1024El21rocsparse_complex_numIfES1_IdES3_S3_EEv20rocsparse_operation_T0_S5_S5_NS_24const_host_device_scalarIT4_EEPKS5_PKT1_PKT2_PT3_21rocsparse_index_base_b.kd
    .uniform_work_group_size: 1
    .uses_dynamic_stack: false
    .vgpr_count:     21
    .vgpr_spill_count: 0
    .wavefront_size: 64
amdhsa.target:   amdgcn-amd-amdhsa--gfx90a
amdhsa.version:
  - 1
  - 2
...

	.end_amdgpu_metadata
